;; amdgpu-corpus repo=ROCm/rocFFT kind=compiled arch=gfx1030 opt=O3
	.text
	.amdgcn_target "amdgcn-amd-amdhsa--gfx1030"
	.amdhsa_code_object_version 6
	.protected	bluestein_single_back_len1248_dim1_sp_op_CI_CI ; -- Begin function bluestein_single_back_len1248_dim1_sp_op_CI_CI
	.globl	bluestein_single_back_len1248_dim1_sp_op_CI_CI
	.p2align	8
	.type	bluestein_single_back_len1248_dim1_sp_op_CI_CI,@function
bluestein_single_back_len1248_dim1_sp_op_CI_CI: ; @bluestein_single_back_len1248_dim1_sp_op_CI_CI
; %bb.0:
	s_load_dwordx4 s[16:19], s[4:5], 0x28
	v_mul_u32_u24_e32 v1, 0x4ed, v0
	s_mov_b64 s[22:23], s[2:3]
	s_mov_b64 s[20:21], s[0:1]
	v_mov_b32_e32 v119, 0
	s_add_u32 s20, s20, s7
	v_lshrrev_b32_e32 v1, 16, v1
	s_addc_u32 s21, s21, 0
	s_mov_b32 s0, exec_lo
	v_add_nc_u32_e32 v118, s6, v1
	s_waitcnt lgkmcnt(0)
	v_cmpx_gt_u64_e64 s[16:17], v[118:119]
	s_cbranch_execz .LBB0_10
; %bb.1:
	s_clause 0x1
	s_load_dwordx4 s[0:3], s[4:5], 0x18
	s_load_dwordx4 s[12:15], s[4:5], 0x0
	v_mul_lo_u16 v1, v1, 52
	v_sub_nc_u16 v34, v0, v1
	v_and_b32_e32 v209, 0xffff, v34
	v_lshlrev_b32_e32 v208, 3, v209
	v_or_b32_e32 v207, 0x340, v209
	v_add_co_u32 v149, null, 0x68, v209
	s_waitcnt lgkmcnt(0)
	s_load_dwordx4 s[8:11], s[0:1], 0x0
	v_add_co_u32 v6, s0, s12, v208
	v_add_co_ci_u32_e64 v7, null, s13, 0, s0
	v_lshlrev_b32_e32 v70, 3, v207
	v_add_co_u32 v22, vcc_lo, 0x1000, v6
	v_add_co_ci_u32_e32 v23, vcc_lo, 0, v7, vcc_lo
	v_add_co_u32 v2, vcc_lo, 0x1800, v6
	v_add_co_ci_u32_e32 v3, vcc_lo, 0, v7, vcc_lo
	v_add_co_u32 v10, vcc_lo, 0x800, v6
	v_add_co_ci_u32_e32 v11, vcc_lo, 0, v7, vcc_lo
	v_add_co_u32 v24, vcc_lo, 0x2000, v6
	s_waitcnt lgkmcnt(0)
	v_mad_u64_u32 v[0:1], null, s10, v118, 0
	v_mad_u64_u32 v[4:5], null, s8, v209, 0
	v_add_co_ci_u32_e32 v25, vcc_lo, 0, v7, vcc_lo
	s_mul_i32 s0, s9, 0x1380
	s_mul_hi_u32 s1, s8, 0x1380
	v_mad_u64_u32 v[6:7], null, s11, v118, v[1:2]
	s_mul_i32 s6, s8, 0x1380
	s_add_i32 s1, s1, s0
	s_mul_hi_u32 s10, s8, 0xffffee20
	s_mul_i32 s7, s9, 0xffffee20
	s_mul_i32 s11, s8, 0xffffee20
	s_sub_i32 s0, s10, s8
	v_mad_u64_u32 v[7:8], null, s9, v209, v[5:6]
	v_mov_b32_e32 v1, v6
	s_add_i32 s0, s0, s7
	s_clause 0x7
	global_load_dwordx2 v[137:138], v208, s[12:13]
	global_load_dwordx2 v[133:134], v208, s[12:13] offset:416
	global_load_dwordx2 v[125:126], v208, s[12:13] offset:832
	;; [unrolled: 1-line block ×4, first 2 shown]
	global_load_dwordx2 v[143:144], v[22:23], off offset:896
	global_load_dwordx2 v[141:142], v[22:23], off offset:1312
	global_load_dwordx2 v[139:140], v[22:23], off offset:1728
	v_lshlrev_b64 v[0:1], 3, v[0:1]
	v_mov_b32_e32 v5, v7
	v_mad_u64_u32 v[6:7], null, s8, v207, 0
	v_add_nc_u32_e32 v146, 0x1000, v208
	v_add_nc_u32_e32 v147, 0x400, v208
	v_lshlrev_b64 v[4:5], 3, v[4:5]
	v_add_co_u32 v8, vcc_lo, s18, v0
	v_add_co_ci_u32_e32 v9, vcc_lo, s19, v1, vcc_lo
	v_mov_b32_e32 v0, v7
	v_add_co_u32 v4, vcc_lo, v8, v4
	v_add_co_ci_u32_e32 v5, vcc_lo, v9, v5, vcc_lo
	v_mad_u64_u32 v[0:1], null, s9, v207, v[0:1]
	v_add_co_u32 v12, vcc_lo, v4, s6
	v_add_co_ci_u32_e32 v13, vcc_lo, s1, v5, vcc_lo
	v_add_nc_u32_e32 v67, 0x1800, v208
	v_add_co_u32 v14, vcc_lo, v12, s11
	v_add_co_ci_u32_e32 v15, vcc_lo, s0, v13, vcc_lo
	v_mov_b32_e32 v7, v0
	v_add_co_u32 v16, vcc_lo, v14, s6
	v_add_co_ci_u32_e32 v17, vcc_lo, s1, v15, vcc_lo
	v_lshlrev_b64 v[0:1], 3, v[6:7]
	v_add_co_u32 v18, vcc_lo, v16, s11
	v_add_co_ci_u32_e32 v19, vcc_lo, s0, v17, vcc_lo
	v_add_nc_u32_e32 v35, 0x1c00, v208
	v_add_co_u32 v20, vcc_lo, v18, s6
	v_add_co_ci_u32_e32 v21, vcc_lo, s1, v19, vcc_lo
	v_add_co_u32 v156, null, 0x9c, v209
	v_add_co_u32 v26, vcc_lo, v20, s11
	v_add_co_ci_u32_e32 v27, vcc_lo, s0, v21, vcc_lo
	v_add_co_u32 v0, vcc_lo, v8, v0
	v_add_co_ci_u32_e32 v1, vcc_lo, v9, v1, vcc_lo
	;; [unrolled: 2-line block ×3, first 2 shown]
	global_load_dwordx2 v[0:1], v[0:1], off
	v_add_co_u32 v30, vcc_lo, v28, s11
	v_add_co_ci_u32_e32 v31, vcc_lo, s0, v29, vcc_lo
	s_clause 0x1
	global_load_dwordx2 v[8:9], v[4:5], off
	global_load_dwordx2 v[4:5], v[12:13], off
	s_clause 0x7
	global_load_dwordx2 v[131:132], v70, s[12:13]
	global_load_dwordx2 v[127:128], v[10:11], off offset:32
	global_load_dwordx2 v[121:122], v[10:11], off offset:448
	global_load_dwordx2 v[116:117], v[10:11], off offset:864
	global_load_dwordx2 v[135:136], v[2:3], off offset:96
	global_load_dwordx2 v[129:130], v[2:3], off offset:928
	global_load_dwordx2 v[119:120], v[2:3], off offset:1344
	global_load_dwordx2 v[112:113], v[2:3], off offset:1760
	s_clause 0x1
	global_load_dwordx2 v[6:7], v[14:15], off
	global_load_dwordx2 v[2:3], v[16:17], off
	s_clause 0x1
	global_load_dwordx2 v[108:109], v[10:11], off offset:1280
	global_load_dwordx2 v[98:99], v[10:11], off offset:1696
	global_load_dwordx2 v[10:11], v[18:19], off
	v_add_co_u32 v171, null, 0xd0, v209
	v_mad_u64_u32 v[12:13], null, 0x1a0, s8, v[30:31]
	s_clause 0x3
	global_load_dwordx2 v[100:101], v[22:23], off offset:64
	global_load_dwordx2 v[110:111], v[24:25], off offset:128
	;; [unrolled: 1-line block ×4, first 2 shown]
	global_load_dwordx2 v[32:33], v[20:21], off
	global_load_dwordx2 v[26:27], v[26:27], off
	;; [unrolled: 1-line block ×4, first 2 shown]
	v_add_co_u32 v169, null, 0x104, v209
	v_add_co_u32 v95, null, 0x138, v209
	;; [unrolled: 1-line block ×3, first 2 shown]
	v_mad_u64_u32 v[13:14], null, 0x1a0, s9, v[13:14]
	v_add_co_u32 v14, vcc_lo, v12, s6
	v_add_co_u32 v154, null, 0x1d4, v209
	v_add_co_u32 v153, null, 0x208, v209
	v_add_co_ci_u32_e32 v15, vcc_lo, s1, v13, vcc_lo
	global_load_dwordx2 v[36:37], v[12:13], off
	v_add_co_u32 v12, vcc_lo, v14, s11
	v_add_co_ci_u32_e32 v13, vcc_lo, s0, v15, vcc_lo
	global_load_dwordx2 v[38:39], v[14:15], off
	v_add_co_u32 v14, vcc_lo, v12, s6
	;; [unrolled: 3-line block ×12, first 2 shown]
	v_add_co_ci_u32_e32 v53, vcc_lo, s1, v49, vcc_lo
	global_load_dwordx2 v[104:105], v[22:23], off offset:480
	global_load_dwordx2 v[48:49], v[48:49], off
	global_load_dwordx2 v[106:107], v[24:25], off offset:1376
	global_load_dwordx2 v[52:53], v[52:53], off
	s_load_dwordx4 s[8:11], s[2:3], 0x0
	v_add_nc_u32_e32 v22, 0x800, v208
	v_add_nc_u32_e32 v24, 0x1400, v208
	;; [unrolled: 1-line block ×3, first 2 shown]
	v_add_co_u32 v150, null, 0x23c, v209
	v_and_b32_e32 v25, 1, v209
	v_add_co_u32 v145, null, v209, 52
	v_add_co_u32 v170, null, 0x16c, v209
	v_lshlrev_b32_e32 v68, 4, v209
	v_lshlrev_b32_e32 v74, 4, v149
	;; [unrolled: 1-line block ×14, first 2 shown]
	s_load_dwordx2 s[2:3], s[4:5], 0x38
	v_cmp_gt_u16_e32 vcc_lo, 44, v34
	s_waitcnt vmcnt(38)
	v_mul_f32_e32 v55, v8, v138
	s_waitcnt vmcnt(37)
	v_mul_f32_e32 v58, v5, v144
	v_mul_f32_e32 v57, v4, v144
	s_waitcnt vmcnt(36)
	v_mul_f32_e32 v56, v1, v132
	v_mul_f32_e32 v60, v0, v132
	;; [unrolled: 1-line block ×3, first 2 shown]
	v_fmac_f32_e32 v58, v4, v143
	v_fma_f32 v59, v5, v143, -v57
	s_waitcnt vmcnt(27)
	v_mul_f32_e32 v4, v3, v142
	v_mul_f32_e32 v5, v2, v142
	v_fmac_f32_e32 v56, v0, v131
	v_fma_f32 v57, v1, v131, -v60
	v_mul_f32_e32 v0, v7, v134
	v_mul_f32_e32 v1, v6, v134
	v_fma_f32 v55, v9, v137, -v55
	v_fmac_f32_e32 v4, v2, v141
	v_fma_f32 v5, v3, v141, -v5
	s_waitcnt vmcnt(24)
	v_mul_f32_e32 v3, v10, v126
	s_waitcnt vmcnt(19)
	v_mul_f32_e32 v2, v33, v140
	v_mul_f32_e32 v9, v32, v140
	v_fmac_f32_e32 v54, v8, v137
	v_fmac_f32_e32 v0, v6, v133
	v_mul_f32_e32 v6, v11, v126
	v_fma_f32 v1, v7, v133, -v1
	v_fma_f32 v7, v11, v125, -v3
	v_fmac_f32_e32 v2, v32, v139
	v_fma_f32 v3, v33, v139, -v9
	ds_write_b64 v208, v[58:59] offset:4992
	v_fmac_f32_e32 v6, v10, v125
	s_waitcnt vmcnt(18)
	v_mul_f32_e32 v8, v27, v124
	v_mul_f32_e32 v10, v26, v124
	ds_write2_b64 v208, v[54:55], v[0:1] offset1:52
	ds_write2_b64 v146, v[4:5], v[2:3] offset0:164 offset1:216
	s_waitcnt vmcnt(17)
	v_mul_f32_e32 v1, v28, v136
	s_waitcnt vmcnt(16)
	v_mul_f32_e32 v0, v31, v115
	v_mul_f32_e32 v3, v30, v115
	s_waitcnt vmcnt(15)
	v_mul_f32_e32 v2, v37, v128
	v_mul_f32_e32 v4, v36, v128
	v_fmac_f32_e32 v8, v26, v123
	v_fma_f32 v9, v27, v123, -v10
	v_fma_f32 v11, v29, v135, -v1
	v_fmac_f32_e32 v0, v30, v114
	v_fma_f32 v1, v31, v114, -v3
	v_fmac_f32_e32 v2, v36, v127
	v_fma_f32 v3, v37, v127, -v4
	ds_write2_b64 v208, v[6:7], v[8:9] offset0:104 offset1:156
	s_waitcnt vmcnt(13)
	v_mul_f32_e32 v6, v41, v122
	s_waitcnt vmcnt(11)
	v_mul_f32_e32 v8, v44, v117
	v_mul_f32_e32 v10, v29, v136
	ds_write2_b64 v147, v[0:1], v[2:3] offset0:80 offset1:132
	v_mul_f32_e32 v1, v40, v122
	v_mul_f32_e32 v3, v42, v120
	;; [unrolled: 1-line block ×6, first 2 shown]
	v_fmac_f32_e32 v6, v40, v121
	v_fma_f32 v7, v41, v121, -v1
	v_fma_f32 v1, v43, v119, -v3
	v_fmac_f32_e32 v2, v44, v116
	v_fma_f32 v3, v45, v116, -v8
	v_fmac_f32_e32 v10, v28, v135
	v_fmac_f32_e32 v4, v38, v129
	v_fma_f32 v5, v39, v129, -v5
	v_fmac_f32_e32 v0, v42, v119
	ds_write2_b64 v22, v[6:7], v[2:3] offset0:56 offset1:108
	ds_write2_b64 v67, v[10:11], v[56:57] offset0:12 offset1:64
	s_waitcnt vmcnt(10)
	v_mul_f32_e32 v8, v47, v113
	v_mul_f32_e32 v9, v46, v113
	ds_write2_b64 v67, v[4:5], v[0:1] offset0:116 offset1:168
	s_waitcnt vmcnt(9)
	v_mul_f32_e32 v0, v17, v109
	s_waitcnt vmcnt(6)
	v_mul_f32_e32 v6, v13, v103
	v_mul_f32_e32 v7, v12, v103
	;; [unrolled: 1-line block ×5, first 2 shown]
	s_waitcnt vmcnt(5)
	v_mul_f32_e32 v10, v15, v101
	v_mul_f32_e32 v11, v14, v101
	;; [unrolled: 1-line block ×4, first 2 shown]
	v_fmac_f32_e32 v6, v12, v102
	s_waitcnt vmcnt(4)
	v_mul_f32_e32 v12, v51, v97
	v_fma_f32 v7, v13, v102, -v7
	v_mul_f32_e32 v13, v50, v97
	v_fmac_f32_e32 v10, v14, v100
	v_fma_f32 v11, v15, v100, -v11
	s_waitcnt vmcnt(2)
	v_mul_f32_e32 v14, v49, v105
	v_mul_f32_e32 v15, v48, v105
	v_fmac_f32_e32 v0, v16, v108
	v_fma_f32 v1, v17, v108, -v1
	s_waitcnt vmcnt(0)
	v_mul_f32_e32 v16, v53, v107
	v_mul_f32_e32 v17, v52, v107
	v_fmac_f32_e32 v8, v46, v112
	v_fma_f32 v9, v47, v112, -v9
	v_fmac_f32_e32 v2, v18, v110
	v_fma_f32 v3, v19, v110, -v3
	;; [unrolled: 2-line block ×6, first 2 shown]
	ds_write2_b64 v35, v[8:9], v[2:3] offset0:92 offset1:144
	ds_write2_b64 v22, v[0:1], v[4:5] offset0:160 offset1:212
	;; [unrolled: 1-line block ×4, first 2 shown]
	ds_write_b64 v208, v[16:17] offset:9568
	s_waitcnt lgkmcnt(0)
	s_barrier
	buffer_gl0_inv
	ds_read2_b64 v[0:3], v208 offset1:52
	ds_read2_b64 v[4:7], v146 offset0:112 offset1:164
	ds_read2_b64 v[8:11], v208 offset0:104 offset1:156
	ds_read2_b64 v[12:15], v24 offset0:88 offset1:140
	ds_read2_b64 v[16:19], v147 offset0:80 offset1:132
	ds_read2_b64 v[26:29], v67 offset0:64 offset1:116
	ds_read2_b64 v[30:33], v22 offset0:56 offset1:108
	ds_read2_b64 v[36:39], v67 offset0:168 offset1:220
	ds_read2_b64 v[40:43], v22 offset0:160 offset1:212
	ds_read2_b64 v[44:47], v23 offset0:16 offset1:68
	ds_read2_b64 v[48:51], v146 offset0:8 offset1:60
	ds_read2_b64 v[52:55], v23 offset0:120 offset1:172
	s_waitcnt lgkmcnt(0)
	s_barrier
	buffer_gl0_inv
	v_sub_f32_e32 v38, v32, v38
	v_sub_f32_e32 v56, v0, v4
	;; [unrolled: 1-line block ×24, first 2 shown]
	v_fma_f32 v54, v0, 2.0, -v56
	v_fma_f32 v55, v1, 2.0, -v57
	;; [unrolled: 1-line block ×24, first 2 shown]
	ds_write_b128 v68, v[54:57]
	ds_write_b128 v77, v[2:5]
	buffer_store_dword v74, off, s[20:23], 0 offset:16 ; 4-byte Folded Spill
	ds_write_b128 v74, v[58:61]
	buffer_store_dword v73, off, s[20:23], 0 offset:12 ; 4-byte Folded Spill
	;; [unrolled: 2-line block ×4, first 2 shown]
	ds_write_b128 v71, v[18:21]
	buffer_store_dword v69, off, s[20:23], 0 ; 4-byte Folded Spill
	ds_write_b128 v69, v[26:29]
	ds_write_b128 v253, v[36:39]
	buffer_store_dword v79, off, s[20:23], 0 offset:32 ; 4-byte Folded Spill
	ds_write_b128 v79, v[85:88]
	buffer_store_dword v78, off, s[20:23], 0 offset:28 ; 4-byte Folded Spill
	;; [unrolled: 2-line block ×4, first 2 shown]
	ds_write_b128 v75, v[50:53]
	s_waitcnt lgkmcnt(0)
	s_waitcnt_vscnt null, 0x0
	s_barrier
	buffer_gl0_inv
	global_load_dwordx2 v[64:65], v66, s[14:15]
	v_and_or_b32 v0, 0x7c, v172, v25
	v_lshlrev_b32_e32 v1, 1, v145
	v_lshlrev_b32_e32 v2, 1, v149
	;; [unrolled: 1-line block ×12, first 2 shown]
	v_and_or_b32 v0, 0xfc, v1, v25
	v_and_or_b32 v1, 0x1fc, v2, v25
	;; [unrolled: 1-line block ×11, first 2 shown]
	v_lshlrev_b32_e32 v94, 3, v0
	v_lshlrev_b32_e32 v92, 3, v1
	;; [unrolled: 1-line block ×4, first 2 shown]
	ds_read2_b64 v[0:3], v146 offset0:112 offset1:164
	v_lshlrev_b32_e32 v76, 3, v4
	v_lshlrev_b32_e32 v75, 3, v5
	;; [unrolled: 1-line block ×5, first 2 shown]
	ds_read2_b64 v[4:7], v24 offset0:88 offset1:140
	v_lshlrev_b32_e32 v84, 3, v9
	v_lshlrev_b32_e32 v83, 3, v10
	ds_read2_b64 v[8:11], v67 offset0:64 offset1:116
	ds_read2_b64 v[12:15], v208 offset1:52
	ds_read2_b64 v[16:19], v208 offset0:104 offset1:156
	ds_read2_b64 v[26:29], v147 offset0:80 offset1:132
	;; [unrolled: 1-line block ×8, first 2 shown]
	s_waitcnt vmcnt(0) lgkmcnt(0)
	s_barrier
	buffer_gl0_inv
	v_mul_f32_e32 v20, v1, v65
	v_mul_f32_e32 v21, v0, v65
	;; [unrolled: 1-line block ×24, first 2 shown]
	v_fma_f32 v0, v0, v64, -v20
	v_fmac_f32_e32 v21, v1, v64
	v_fma_f32 v2, v2, v64, -v23
	v_fma_f32 v23, v32, v64, -v68
	v_fmac_f32_e32 v69, v33, v64
	v_fma_f32 v32, v40, v64, -v79
	v_fmac_f32_e32 v80, v41, v64
	;; [unrolled: 2-line block ×3, first 2 shown]
	v_fmac_f32_e32 v24, v3, v64
	v_fma_f32 v4, v4, v64, -v25
	v_fmac_f32_e32 v44, v5, v64
	v_fma_f32 v6, v6, v64, -v45
	;; [unrolled: 2-line block ×7, first 2 shown]
	v_fmac_f32_e32 v78, v39, v64
	v_sub_f32_e32 v0, v12, v0
	v_sub_f32_e32 v1, v13, v21
	;; [unrolled: 1-line block ×24, first 2 shown]
	v_fma_f32 v12, v12, 2.0, -v0
	v_fma_f32 v13, v13, 2.0, -v1
	v_fma_f32 v42, v58, 2.0, -v36
	v_fma_f32 v43, v59, 2.0, -v37
	v_fma_f32 v38, v60, 2.0, -v32
	v_fma_f32 v39, v61, 2.0, -v33
	v_fma_f32 v14, v14, 2.0, -v2
	v_fma_f32 v15, v15, 2.0, -v3
	v_fma_f32 v16, v16, 2.0, -v4
	v_fma_f32 v17, v17, 2.0, -v5
	v_fma_f32 v18, v18, 2.0, -v6
	v_fma_f32 v19, v19, 2.0, -v7
	v_fma_f32 v20, v26, 2.0, -v8
	v_fma_f32 v21, v27, 2.0, -v9
	v_fma_f32 v28, v28, 2.0, -v10
	v_fma_f32 v29, v29, 2.0, -v11
	v_fma_f32 v30, v50, 2.0, -v24
	v_fma_f32 v31, v51, 2.0, -v25
	v_fma_f32 v26, v52, 2.0, -v44
	v_fma_f32 v27, v53, 2.0, -v45
	v_fma_f32 v46, v54, 2.0, -v48
	v_fma_f32 v47, v55, 2.0, -v49
	v_fma_f32 v50, v56, 2.0, -v40
	v_fma_f32 v51, v57, 2.0, -v41
	ds_write2_b64 v93, v[12:13], v[0:1] offset1:2
	ds_write2_b64 v94, v[14:15], v[2:3] offset1:2
	;; [unrolled: 1-line block ×10, first 2 shown]
	buffer_store_dword v84, off, s[20:23], 0 offset:40 ; 4-byte Folded Spill
	ds_write2_b64 v84, v[42:43], v[36:37] offset1:2
	buffer_store_dword v83, off, s[20:23], 0 offset:36 ; 4-byte Folded Spill
	ds_write2_b64 v83, v[38:39], v[32:33] offset1:2
	s_waitcnt lgkmcnt(0)
	s_waitcnt_vscnt null, 0x0
	s_barrier
	buffer_gl0_inv
	ds_read2_b64 v[28:31], v208 offset1:96
	ds_read2_b64 v[60:63], v147 offset0:64 offset1:160
	ds_read2_b64 v[20:23], v22 offset0:128 offset1:224
	;; [unrolled: 1-line block ×3, first 2 shown]
	ds_read_b64 v[68:69], v208 offset:9216
	ds_read2_b64 v[56:59], v67 offset1:96
	ds_read2_b64 v[52:55], v35 offset0:64 offset1:160
                                        ; implicit-def: $vgpr66
	s_and_saveexec_b32 s0, vcc_lo
	s_cbranch_execz .LBB0_3
; %bb.2:
	v_add_nc_u32_e32 v0, 0xc00, v208
	ds_read2_b64 v[24:27], v208 offset0:52 offset1:148
	ds_read2_b64 v[44:47], v147 offset0:116 offset1:212
	;; [unrolled: 1-line block ×6, first 2 shown]
	ds_read_b64 v[66:67], v208 offset:9632
.LBB0_3:
	s_or_b32 exec_lo, exec_lo, s0
	v_and_b32_e32 v210, 3, v209
	v_mul_u32_u24_e32 v0, 12, v210
	v_lshlrev_b32_e32 v71, 3, v0
	s_clause 0x3
	global_load_dwordx4 v[12:15], v71, s[14:15] offset:16
	global_load_dwordx4 v[8:11], v71, s[14:15] offset:32
	global_load_dwordx4 v[0:3], v71, s[14:15] offset:48
	global_load_dwordx4 v[4:7], v71, s[14:15] offset:64
	s_waitcnt vmcnt(3) lgkmcnt(5)
	v_mul_f32_e32 v72, v61, v15
	v_mul_f32_e32 v146, v60, v15
	s_waitcnt vmcnt(2)
	v_mul_f32_e32 v73, v63, v9
	v_mul_f32_e32 v147, v62, v9
	s_waitcnt vmcnt(1) lgkmcnt(3)
	v_mul_f32_e32 v152, v16, v3
	v_fma_f32 v60, v60, v14, -v72
	v_mul_f32_e32 v72, v21, v11
	v_fmac_f32_e32 v146, v61, v14
	v_fma_f32 v61, v62, v8, -v73
	v_mul_f32_e32 v62, v20, v11
	v_fmac_f32_e32 v147, v63, v8
	v_fma_f32 v148, v20, v10, -v72
	v_mul_f32_e32 v20, v17, v3
	v_mul_f32_e32 v73, v23, v1
	;; [unrolled: 1-line block ×3, first 2 shown]
	v_fmac_f32_e32 v62, v21, v10
	s_waitcnt vmcnt(0)
	v_mul_f32_e32 v21, v19, v5
	v_mul_f32_e32 v157, v18, v5
	v_fma_f32 v158, v16, v2, -v20
	s_waitcnt lgkmcnt(1)
	v_mul_f32_e32 v16, v57, v7
	v_fma_f32 v151, v22, v0, -v73
	v_fmac_f32_e32 v63, v23, v0
	v_fmac_f32_e32 v152, v17, v2
	v_fma_f32 v159, v18, v4, -v21
	v_fmac_f32_e32 v157, v19, v4
	v_mul_f32_e32 v160, v56, v7
	v_fma_f32 v56, v56, v6, -v16
	s_clause 0x1
	global_load_dwordx4 v[16:19], v71, s[14:15] offset:80
	global_load_dwordx4 v[20:23], v71, s[14:15] offset:96
	v_add_f32_e32 v213, v158, v159
	v_sub_f32_e32 v225, v152, v157
	v_fmac_f32_e32 v160, v57, v6
	v_add_f32_e32 v200, v151, v56
	v_sub_f32_e32 v211, v151, v56
	v_sub_f32_e32 v226, v158, v159
	v_mul_f32_e32 v215, 0x3eedf032, v225
	v_sub_f32_e32 v206, v63, v160
	v_add_f32_e32 v203, v63, v160
	v_mul_f32_e32 v205, 0x3f7e222b, v211
	v_add_f32_e32 v214, v152, v157
	v_mul_f32_e32 v216, 0x3eedf032, v226
	v_mul_f32_e32 v204, 0x3f7e222b, v206
	;; [unrolled: 1-line block ×6, first 2 shown]
	s_waitcnt vmcnt(0) lgkmcnt(0)
	s_barrier
	buffer_gl0_inv
	v_mul_f32_e32 v57, v59, v17
	v_mul_f32_e32 v161, v52, v19
	;; [unrolled: 1-line block ×3, first 2 shown]
	v_fma_f32 v57, v58, v16, -v57
	v_mul_f32_e32 v58, v58, v17
	v_fmac_f32_e32 v161, v53, v18
	v_fmac_f32_e32 v163, v55, v20
	v_add_f32_e32 v194, v148, v57
	v_fmac_f32_e32 v58, v59, v16
	v_mul_f32_e32 v59, v53, v19
	v_mul_f32_e32 v53, v44, v15
	v_sub_f32_e32 v183, v146, v163
	v_sub_f32_e32 v192, v147, v161
	v_add_f32_e32 v189, v147, v161
	v_fma_f32 v59, v52, v18, -v59
	v_mul_f32_e32 v52, v55, v21
	v_fmac_f32_e32 v53, v45, v14
	v_mul_f32_e32 v174, 0xbf6f5d39, v183
	v_mul_f32_e32 v190, 0xbe750f2a, v192
	v_add_f32_e32 v182, v61, v59
	v_fma_f32 v162, v54, v20, -v52
	v_mul_f32_e32 v52, v45, v15
	v_mul_f32_e32 v54, v46, v9
	v_mul_f32_e32 v45, v49, v11
	v_sub_f32_e32 v193, v61, v59
	v_sub_f32_e32 v186, v60, v162
	v_fma_f32 v52, v44, v14, -v52
	v_mul_f32_e32 v44, v47, v9
	v_fmac_f32_e32 v54, v47, v8
	v_fma_f32 v45, v48, v10, -v45
	v_mul_f32_e32 v48, v48, v11
	v_mul_f32_e32 v47, v41, v3
	v_fma_f32 v44, v46, v8, -v44
	v_mul_f32_e32 v46, v51, v1
	v_mul_f32_e32 v176, 0xbf6f5d39, v186
	v_fmac_f32_e32 v48, v49, v10
	v_mul_f32_e32 v49, v50, v1
	v_fma_f32 v47, v40, v2, -v47
	v_fma_f32 v46, v50, v0, -v46
	v_mul_f32_e32 v50, v40, v3
	v_mul_f32_e32 v40, v43, v5
	v_fmac_f32_e32 v49, v51, v0
	v_mul_f32_e32 v51, v38, v17
	v_mul_f32_e32 v191, 0xbe750f2a, v193
	v_fmac_f32_e32 v50, v41, v2
	v_fma_f32 v40, v42, v4, -v40
	v_mul_f32_e32 v42, v42, v5
	v_mul_f32_e32 v41, v37, v7
	v_fmac_f32_e32 v51, v39, v16
	v_sub_f32_e32 v198, v62, v58
	v_sub_f32_e32 v199, v148, v57
	v_fmac_f32_e32 v42, v43, v4
	v_fma_f32 v41, v36, v6, -v41
	v_mul_f32_e32 v43, v36, v7
	v_mul_f32_e32 v36, v39, v17
	;; [unrolled: 1-line block ×4, first 2 shown]
	v_add_f32_e32 v195, v62, v58
	v_fmac_f32_e32 v43, v37, v6
	v_fma_f32 v36, v38, v16, -v36
	v_mul_f32_e32 v38, v32, v19
	v_mul_f32_e32 v37, v33, v19
	v_fmac_f32_e32 v39, v31, v12
	v_mul_f32_e32 v31, v31, v13
	v_mul_f32_e32 v197, 0x3f29c268, v199
	v_fmac_f32_e32 v38, v33, v18
	v_mul_f32_e32 v33, v34, v21
	v_fma_f32 v37, v32, v18, -v37
	v_mul_f32_e32 v32, v35, v21
	v_fma_f32 v30, v30, v12, -v31
	v_add_f32_e32 v179, v29, v39
	v_fmac_f32_e32 v33, v35, v20
	v_mul_f32_e32 v35, v68, v23
	v_fma_f32 v32, v34, v20, -v32
	v_mul_f32_e32 v34, v69, v23
	v_add_f32_e32 v178, v28, v30
	v_mul_f32_e32 v217, 0xbe750f2a, v183
	v_fmac_f32_e32 v35, v69, v22
	v_mul_f32_e32 v218, 0x3f6f5d39, v193
	v_fma_f32 v34, v68, v22, -v34
	v_mul_f32_e32 v219, 0x3eedf032, v198
	v_mul_f32_e32 v220, 0x3eedf032, v199
	v_sub_f32_e32 v31, v39, v35
	v_add_f32_e32 v89, v39, v35
	v_mul_f32_e32 v55, 0xbeedf032, v31
	v_mul_f32_e32 v68, 0xbf52af12, v31
	;; [unrolled: 1-line block ×6, first 2 shown]
	v_add_f32_e32 v31, v30, v34
	v_fma_f32 v69, 0x3f62ad3f, v31, -v55
	v_fmac_f32_e32 v55, 0x3f62ad3f, v31
	v_fma_f32 v79, 0x3f116cb1, v31, -v68
	v_fmac_f32_e32 v68, 0x3f116cb1, v31
	;; [unrolled: 2-line block ×6, first 2 shown]
	v_sub_f32_e32 v31, v30, v34
	v_add_f32_e32 v181, v28, v69
	v_add_f32_e32 v30, v28, v55
	;; [unrolled: 1-line block ×4, first 2 shown]
	v_mul_f32_e32 v84, 0xbeedf032, v31
	v_mul_f32_e32 v85, 0xbf52af12, v31
	;; [unrolled: 1-line block ×6, first 2 shown]
	v_fmamk_f32 v164, v89, 0x3f62ad3f, v84
	v_fma_f32 v84, 0x3f62ad3f, v89, -v84
	v_fmamk_f32 v165, v89, 0x3f116cb1, v85
	v_fmamk_f32 v167, v89, 0xbeb58ec6, v87
	;; [unrolled: 1-line block ×3, first 2 shown]
	v_fma_f32 v85, 0x3f116cb1, v89, -v85
	v_fmamk_f32 v166, v89, 0x3df6dbef, v86
	v_fma_f32 v86, 0x3df6dbef, v89, -v86
	v_fma_f32 v87, 0xbeb58ec6, v89, -v87
	v_fmamk_f32 v168, v89, 0xbf3f9e67, v88
	v_fma_f32 v88, 0xbf3f9e67, v89, -v88
	v_fma_f32 v89, 0xbf788fa5, v89, -v31
	v_add_f32_e32 v31, v29, v84
	v_add_f32_e32 v84, v29, v165
	;; [unrolled: 1-line block ×21, first 2 shown]
	v_fma_f32 v29, 0xbeb58ec6, v28, -v174
	v_fma_f32 v73, 0xbf788fa5, v182, -v190
	v_mul_f32_e32 v80, 0x3f29c268, v186
	v_mul_f32_e32 v81, 0x3eedf032, v192
	;; [unrolled: 1-line block ×3, first 2 shown]
	v_add_f32_e32 v71, v29, v79
	v_add_f32_e32 v29, v146, v163
	v_mul_f32_e32 v83, 0xbf7e222b, v198
	v_mul_f32_e32 v85, 0x3e750f2a, v206
	;; [unrolled: 1-line block ×3, first 2 shown]
	v_add_f32_e32 v71, v73, v71
	v_fmamk_f32 v72, v29, 0xbeb58ec6, v176
	v_fmamk_f32 v73, v189, 0xbf788fa5, v191
	v_mul_f32_e32 v87, 0x3f52af12, v225
	v_mul_f32_e32 v88, 0x3f52af12, v226
	;; [unrolled: 1-line block ×3, first 2 shown]
	v_add_f32_e32 v72, v72, v84
	v_mul_f32_e32 v84, 0xbf7e222b, v199
	v_add_f32_e32 v60, v178, v60
	v_add_f32_e32 v146, v179, v146
	v_fmac_f32_e32 v174, 0xbeb58ec6, v28
	v_add_f32_e32 v72, v73, v72
	v_fma_f32 v73, 0xbf3f9e67, v194, -v196
	v_add_f32_e32 v60, v60, v61
	v_add_f32_e32 v61, v146, v147
	v_fmac_f32_e32 v190, 0xbf788fa5, v182
	v_fmac_f32_e32 v196, 0xbf3f9e67, v194
	v_add_f32_e32 v71, v73, v71
	v_fmamk_f32 v73, v195, 0xbf3f9e67, v197
	v_add_f32_e32 v60, v60, v148
	v_add_f32_e32 v61, v61, v62
	v_add_f32_e32 v72, v73, v72
	v_fma_f32 v73, 0x3df6dbef, v200, -v204
	v_add_f32_e32 v60, v60, v151
	v_add_f32_e32 v61, v61, v63
	v_fmac_f32_e32 v204, 0x3df6dbef, v200
	v_add_f32_e32 v71, v73, v71
	v_fmamk_f32 v73, v203, 0x3df6dbef, v205
	v_add_f32_e32 v60, v60, v158
	v_add_f32_e32 v61, v61, v152
	v_add_f32_e32 v72, v73, v72
	v_fma_f32 v73, 0x3f62ad3f, v213, -v215
	v_add_f32_e32 v60, v60, v159
	v_add_f32_e32 v61, v61, v157
	;; [unrolled: 9-line block ×3, first 2 shown]
	v_mul_f32_e32 v58, 0xbf29c268, v192
	v_fmac_f32_e32 v217, 0xbf788fa5, v28
	v_add_f32_e32 v73, v73, v202
	v_mul_f32_e32 v202, 0xbe750f2a, v186
	v_add_f32_e32 v56, v56, v59
	v_add_f32_e32 v57, v57, v161
	v_fma_f32 v59, 0xbf3f9e67, v182, -v58
	v_fmac_f32_e32 v58, 0xbf3f9e67, v182
	v_fmamk_f32 v78, v29, 0xbf788fa5, v202
	v_add_f32_e32 v56, v56, v162
	v_add_f32_e32 v57, v57, v163
	;; [unrolled: 1-line block ×3, first 2 shown]
	v_mul_f32_e32 v201, 0x3f6f5d39, v192
	v_add_f32_e32 v34, v56, v34
	v_add_f32_e32 v35, v57, v35
	v_mul_f32_e32 v56, 0x3eedf032, v183
	v_mul_f32_e32 v57, 0x3eedf032, v186
	v_fma_f32 v79, 0xbeb58ec6, v182, -v201
	v_fmac_f32_e32 v201, 0xbeb58ec6, v182
	v_add_f32_e32 v73, v79, v73
	v_fmamk_f32 v79, v189, 0xbeb58ec6, v218
	v_add_f32_e32 v78, v79, v78
	v_fma_f32 v79, 0x3f62ad3f, v194, -v219
	v_fmac_f32_e32 v219, 0x3f62ad3f, v194
	v_add_f32_e32 v73, v79, v73
	v_fmamk_f32 v79, v195, 0x3f62ad3f, v220
	v_add_f32_e32 v78, v79, v78
	;; [unrolled: 5-line block ×4, first 2 shown]
	v_lshrrev_b32_e32 v73, 2, v209
	v_mul_u32_u24_e32 v73, 52, v73
	v_or_b32_e32 v73, v73, v210
	v_lshlrev_b32_e32 v212, 3, v73
	v_mul_f32_e32 v73, 0x3f29c268, v183
	ds_write2_b64 v212, v[71:72], v[78:79] offset0:8 offset1:12
	v_fma_f32 v71, 0xbf3f9e67, v28, -v73
	v_fmamk_f32 v72, v29, 0xbf3f9e67, v80
	v_fma_f32 v78, 0x3f62ad3f, v182, -v81
	v_fmac_f32_e32 v73, 0xbf3f9e67, v28
	v_fmac_f32_e32 v81, 0x3f62ad3f, v182
	v_add_f32_e32 v71, v71, v188
	v_add_f32_e32 v72, v72, v187
	;; [unrolled: 1-line block ×3, first 2 shown]
	v_fmamk_f32 v78, v189, 0x3f62ad3f, v82
	v_add_f32_e32 v72, v78, v72
	v_fma_f32 v78, 0x3df6dbef, v194, -v83
	v_fmac_f32_e32 v83, 0x3df6dbef, v194
	v_add_f32_e32 v71, v78, v71
	v_fmamk_f32 v78, v195, 0x3df6dbef, v84
	v_add_f32_e32 v72, v78, v72
	v_fma_f32 v78, 0xbf788fa5, v200, -v85
	v_fmac_f32_e32 v85, 0xbf788fa5, v200
	v_add_f32_e32 v71, v78, v71
	;; [unrolled: 5-line block ×4, first 2 shown]
	v_mul_f32_e32 v185, 0x3f7e222b, v186
	v_fmamk_f32 v79, v29, 0x3df6dbef, v185
	v_add_f32_e32 v79, v79, v184
	v_mul_f32_e32 v184, 0xbf52af12, v192
	v_fma_f32 v187, 0x3f116cb1, v182, -v184
	v_fmac_f32_e32 v184, 0x3f116cb1, v182
	v_add_f32_e32 v78, v187, v78
	v_mul_f32_e32 v187, 0xbf52af12, v193
	v_fmamk_f32 v188, v189, 0x3f116cb1, v187
	v_add_f32_e32 v79, v188, v79
	v_mul_f32_e32 v188, 0x3e750f2a, v198
	v_fma_f32 v227, 0xbf788fa5, v194, -v188
	v_fmac_f32_e32 v188, 0xbf788fa5, v194
	v_add_f32_e32 v78, v227, v78
	;; [unrolled: 7-line block ×4, first 2 shown]
	v_mul_f32_e32 v231, 0xbf6f5d39, v226
	v_fmamk_f32 v232, v214, 0xbeb58ec6, v231
	v_add_f32_e32 v79, v232, v79
	ds_write2_b64 v212, v[71:72], v[78:79] offset0:16 offset1:20
	v_mul_f32_e32 v79, 0xbf52af12, v186
	v_mul_f32_e32 v78, 0xbf52af12, v183
	v_sub_f32_e32 v186, v52, v32
	v_fmamk_f32 v72, v29, 0x3f116cb1, v79
	v_fma_f32 v71, 0x3f116cb1, v28, -v78
	v_fmac_f32_e32 v78, 0x3f116cb1, v28
	v_mul_f32_e32 v152, 0xbf52af12, v186
	v_add_f32_e32 v72, v72, v180
	v_mul_f32_e32 v180, 0xbf7e222b, v192
	v_add_f32_e32 v71, v71, v181
	v_fma_f32 v181, 0x3df6dbef, v182, -v180
	v_fmac_f32_e32 v180, 0x3df6dbef, v182
	v_add_f32_e32 v71, v181, v71
	v_mul_f32_e32 v181, 0xbf7e222b, v193
	v_fmamk_f32 v232, v189, 0x3df6dbef, v181
	v_add_f32_e32 v72, v232, v72
	v_mul_f32_e32 v232, 0xbf6f5d39, v198
	v_fma_f32 v233, 0xbeb58ec6, v194, -v232
	v_fmac_f32_e32 v232, 0xbeb58ec6, v194
	v_add_f32_e32 v71, v233, v71
	v_mul_f32_e32 v233, 0xbf6f5d39, v199
	v_fmamk_f32 v234, v195, 0xbeb58ec6, v233
	v_add_f32_e32 v72, v234, v72
	v_mul_f32_e32 v234, 0xbf29c268, v206
	;; [unrolled: 7-line block ×3, first 2 shown]
	v_fma_f32 v237, 0xbf788fa5, v213, -v236
	v_fmac_f32_e32 v236, 0xbf788fa5, v213
	v_add_f32_e32 v71, v237, v71
	v_mul_f32_e32 v237, 0xbe750f2a, v226
	v_fmamk_f32 v238, v214, 0xbf788fa5, v237
	v_add_f32_e32 v72, v238, v72
	ds_write2_b64 v212, v[34:35], v[71:72] offset1:4
	v_fma_f32 v34, 0x3f62ad3f, v28, -v56
	v_fmamk_f32 v35, v29, 0x3f62ad3f, v57
	v_fmac_f32_e32 v56, 0x3f62ad3f, v28
	v_fma_f32 v57, 0x3f62ad3f, v29, -v57
	v_mul_f32_e32 v72, 0x3f7e222b, v226
	v_add_f32_e32 v34, v34, v177
	v_add_f32_e32 v35, v35, v175
	;; [unrolled: 1-line block ×4, first 2 shown]
	v_fma_f32 v28, 0x3f116cb1, v29, -v79
	v_add_f32_e32 v34, v59, v34
	v_mul_f32_e32 v59, 0xbf29c268, v193
	v_add_f32_e32 v56, v58, v56
	v_sub_f32_e32 v173, v48, v51
	v_add_f32_e32 v28, v28, v31
	v_fma_f32 v31, 0x3df6dbef, v189, -v181
	v_fmamk_f32 v60, v189, 0xbf3f9e67, v59
	v_fma_f32 v58, 0xbf3f9e67, v189, -v59
	v_mul_f32_e32 v151, 0xbf6f5d39, v173
	v_sub_f32_e32 v168, v50, v42
	v_add_f32_e32 v28, v31, v28
	v_add_f32_e32 v35, v60, v35
	v_mul_f32_e32 v60, 0x3f52af12, v198
	v_add_f32_e32 v57, v58, v57
	v_fma_f32 v31, 0xbeb58ec6, v195, -v233
	v_mul_f32_e32 v158, 0xbe750f2a, v168
	v_mul_f32_e32 v178, 0x3f29c268, v173
	v_fma_f32 v61, 0x3f116cb1, v194, -v60
	v_fmac_f32_e32 v60, 0x3f116cb1, v194
	v_add_f32_e32 v34, v61, v34
	v_mul_f32_e32 v61, 0x3f52af12, v199
	v_add_f32_e32 v56, v60, v56
	v_add_f32_e32 v60, v54, v38
	v_fmamk_f32 v62, v195, 0x3f116cb1, v61
	v_fma_f32 v58, 0x3f116cb1, v195, -v61
	v_add_f32_e32 v35, v62, v35
	v_mul_f32_e32 v62, 0xbf6f5d39, v206
	v_add_f32_e32 v57, v58, v57
	v_fma_f32 v63, 0xbeb58ec6, v200, -v62
	v_fmac_f32_e32 v62, 0xbeb58ec6, v200
	v_add_f32_e32 v34, v63, v34
	v_mul_f32_e32 v63, 0xbf6f5d39, v211
	v_add_f32_e32 v56, v62, v56
	v_lshrrev_b32_e32 v211, 2, v145
	v_fmamk_f32 v71, v203, 0xbeb58ec6, v63
	v_fma_f32 v58, 0xbeb58ec6, v203, -v63
	v_add_f32_e32 v63, v48, v51
	v_add_f32_e32 v35, v71, v35
	v_mul_f32_e32 v71, 0x3f7e222b, v225
	v_add_f32_e32 v57, v58, v57
	v_fma_f32 v58, 0x3df6dbef, v214, -v72
	v_fma_f32 v146, 0x3df6dbef, v213, -v71
	v_fmac_f32_e32 v71, 0x3df6dbef, v213
	v_add_f32_e32 v57, v58, v57
	v_fma_f32 v58, 0x3f116cb1, v189, -v187
	v_mul_f32_e32 v187, 0xbf6f5d39, v186
	v_add_f32_e32 v34, v146, v34
	v_fmamk_f32 v146, v214, 0x3df6dbef, v72
	v_add_f32_e32 v56, v71, v56
	v_add_f32_e32 v35, v146, v35
	ds_write2_b64 v212, v[34:35], v[56:57] offset0:24 offset1:28
	v_fma_f32 v35, 0xbf3f9e67, v29, -v80
	v_fma_f32 v56, 0x3f62ad3f, v189, -v82
	;; [unrolled: 1-line block ×3, first 2 shown]
	v_add_f32_e32 v34, v73, v167
	v_sub_f32_e32 v167, v49, v43
	v_add_f32_e32 v35, v35, v166
	v_mul_f32_e32 v166, 0x3eedf032, v168
	v_add_f32_e32 v57, v57, v164
	v_add_f32_e32 v34, v81, v34
	v_mul_f32_e32 v157, 0xbf29c268, v167
	v_add_f32_e32 v35, v56, v35
	v_fma_f32 v56, 0x3df6dbef, v195, -v84
	v_add_f32_e32 v57, v58, v57
	v_fma_f32 v58, 0xbf788fa5, v195, -v227
	v_add_f32_e32 v34, v83, v34
	v_mul_f32_e32 v179, 0x3f7e222b, v167
	v_add_f32_e32 v35, v56, v35
	v_fma_f32 v56, 0xbf788fa5, v203, -v86
	v_add_f32_e32 v57, v58, v57
	v_fma_f32 v58, 0x3f62ad3f, v203, -v229
	v_add_f32_e32 v34, v85, v34
	v_add_f32_e32 v35, v56, v35
	v_fma_f32 v56, 0x3f116cb1, v214, -v88
	v_add_f32_e32 v57, v58, v57
	v_fma_f32 v58, 0xbeb58ec6, v214, -v231
	v_add_f32_e32 v34, v87, v34
	v_add_f32_e32 v35, v56, v35
	;; [unrolled: 1-line block ×4, first 2 shown]
	v_sub_f32_e32 v165, v53, v33
	v_add_f32_e32 v56, v184, v56
	v_sub_f32_e32 v184, v47, v40
	v_mul_f32_e32 v175, 0xbf6f5d39, v165
	v_add_f32_e32 v56, v188, v56
	v_mul_f32_e32 v163, 0xbe750f2a, v184
	v_add_f32_e32 v56, v228, v56
	v_add_f32_e32 v56, v230, v56
	ds_write2_b64 v212, v[56:57], v[34:35] offset0:32 offset1:36
	v_fma_f32 v35, 0xbeb58ec6, v29, -v176
	v_add_f32_e32 v34, v174, v69
	v_fma_f32 v56, 0xbf788fa5, v189, -v191
	v_fma_f32 v57, 0x3f62ad3f, v214, -v216
	v_mul_f32_e32 v69, 0xbf52af12, v165
	v_add_f32_e32 v35, v35, v68
	v_add_f32_e32 v34, v190, v34
	v_mul_f32_e32 v68, v26, v13
	v_sub_f32_e32 v174, v54, v38
	v_sub_f32_e32 v190, v44, v37
	v_add_f32_e32 v35, v56, v35
	v_fma_f32 v56, 0xbf3f9e67, v195, -v197
	v_add_f32_e32 v34, v196, v34
	v_fmac_f32_e32 v68, v27, v12
	v_mul_f32_e32 v146, 0xbf7e222b, v174
	v_mul_f32_e32 v160, 0xbf7e222b, v190
	v_add_f32_e32 v35, v56, v35
	v_fma_f32 v56, 0x3df6dbef, v203, -v205
	v_add_f32_e32 v34, v204, v34
	v_sub_f32_e32 v191, v45, v36
	v_mul_f32_e32 v177, 0xbe750f2a, v174
	v_mul_f32_e32 v181, 0xbe750f2a, v190
	v_add_f32_e32 v35, v56, v35
	v_add_f32_e32 v56, v215, v34
	v_add_f32_e32 v34, v217, v55
	v_mul_f32_e32 v161, 0xbf6f5d39, v191
	v_mul_f32_e32 v182, 0x3f29c268, v191
	v_add_f32_e32 v57, v57, v35
	v_fma_f32 v35, 0xbf788fa5, v29, -v202
	v_add_f32_e32 v34, v201, v34
	v_add_f32_e32 v29, v78, v30
	v_mul_f32_e32 v30, v67, v23
	v_add_f32_e32 v35, v35, v39
	v_fma_f32 v39, 0xbeb58ec6, v189, -v218
	v_add_f32_e32 v34, v219, v34
	v_fma_f32 v30, v66, v22, -v30
	v_add_f32_e32 v29, v180, v29
	v_sub_f32_e32 v189, v46, v41
	v_add_f32_e32 v35, v39, v35
	v_fma_f32 v39, 0x3f62ad3f, v195, -v220
	v_add_f32_e32 v34, v221, v34
	v_add_f32_e32 v29, v232, v29
	v_mul_f32_e32 v162, 0xbf29c268, v189
	v_mul_f32_e32 v183, 0x3f7e222b, v189
	v_add_f32_e32 v35, v39, v35
	v_fma_f32 v39, 0x3f116cb1, v203, -v222
	v_add_f32_e32 v58, v223, v34
	v_mul_f32_e32 v34, v66, v23
	v_mul_f32_e32 v180, 0x3eedf032, v184
	v_add_f32_e32 v35, v39, v35
	v_fma_f32 v39, 0xbf3f9e67, v214, -v224
	v_fmac_f32_e32 v34, v67, v22
	v_add_f32_e32 v59, v39, v35
	v_mul_f32_e32 v35, v27, v13
	v_sub_f32_e32 v164, v68, v34
	v_add_f32_e32 v27, v31, v28
	v_fma_f32 v28, 0xbf3f9e67, v203, -v235
	v_add_f32_e32 v61, v68, v34
	v_fma_f32 v67, v26, v12, -v35
	v_mul_f32_e32 v66, 0xbeedf032, v164
	v_add_f32_e32 v26, v234, v29
	v_add_f32_e32 v35, v52, v32
	ds_write2_b64 v212, v[58:59], v[56:57] offset0:40 offset1:44
	v_add_f32_e32 v31, v67, v30
	v_sub_f32_e32 v185, v67, v30
	v_add_f32_e32 v27, v28, v27
	v_fma_f32 v29, 0xbf788fa5, v214, -v237
	v_add_f32_e32 v28, v236, v26
	v_fmamk_f32 v39, v31, 0x3f62ad3f, v66
	v_mul_f32_e32 v159, 0xbeedf032, v185
	v_add_f32_e32 v56, v53, v33
	v_add_f32_e32 v29, v29, v27
	;; [unrolled: 1-line block ×4, first 2 shown]
	v_fmamk_f32 v39, v35, 0x3f116cb1, v69
	v_fma_f32 v55, 0x3f62ad3f, v61, -v159
	v_add_f32_e32 v59, v49, v43
	v_mul_f32_e32 v176, 0xbf52af12, v164
	v_mul_f32_e32 v188, 0xbf52af12, v185
	v_add_f32_e32 v26, v39, v26
	v_add_f32_e32 v27, v25, v55
	v_fma_f32 v55, 0x3f116cb1, v56, -v152
	v_add_f32_e32 v39, v44, v37
	v_fma_f32 v71, 0xbeb58ec6, v56, -v187
	ds_write_b64 v212, v[28:29] offset:384
	v_add_f32_e32 v27, v55, v27
	v_fmamk_f32 v55, v39, 0x3df6dbef, v146
	v_add_f32_e32 v26, v55, v26
	v_fma_f32 v55, 0x3df6dbef, v60, -v160
	v_add_f32_e32 v27, v55, v27
	v_fmamk_f32 v55, v57, 0xbeb58ec6, v151
	v_add_f32_e32 v26, v55, v26
	v_fma_f32 v55, 0xbeb58ec6, v63, -v161
	v_add_f32_e32 v27, v55, v27
	v_add_f32_e32 v55, v46, v41
	v_fmamk_f32 v58, v55, 0xbf3f9e67, v157
	v_add_f32_e32 v26, v58, v26
	v_fma_f32 v58, 0xbf3f9e67, v59, -v162
	v_add_f32_e32 v27, v58, v27
	v_add_f32_e32 v58, v47, v40
	v_fmamk_f32 v62, v58, 0xbf788fa5, v158
	v_add_f32_e32 v147, v62, v26
	v_add_f32_e32 v62, v50, v42
	v_fma_f32 v26, 0xbf788fa5, v62, -v163
	v_fma_f32 v72, 0x3f62ad3f, v62, -v180
	v_add_f32_e32 v148, v26, v27
	v_fmamk_f32 v26, v31, 0x3f116cb1, v176
	v_fmamk_f32 v27, v35, 0xbeb58ec6, v175
	v_add_f32_e32 v26, v24, v26
	v_add_f32_e32 v26, v27, v26
	v_fma_f32 v27, 0x3f116cb1, v61, -v188
	v_add_f32_e32 v27, v25, v27
	v_add_f32_e32 v27, v71, v27
	v_fmamk_f32 v71, v39, 0xbf788fa5, v177
	v_add_f32_e32 v26, v71, v26
	v_fma_f32 v71, 0xbf788fa5, v60, -v181
	v_add_f32_e32 v27, v71, v27
	v_fmamk_f32 v71, v57, 0xbf3f9e67, v178
	v_add_f32_e32 v26, v71, v26
	v_fma_f32 v71, 0xbf3f9e67, v63, -v182
	;; [unrolled: 4-line block ×3, first 2 shown]
	v_add_f32_e32 v27, v71, v27
	v_fmamk_f32 v71, v58, 0x3f62ad3f, v166
	v_add_f32_e32 v27, v72, v27
	v_add_f32_e32 v26, v71, v26
	s_and_saveexec_b32 s0, vcc_lo
	s_cbranch_execz .LBB0_5
; %bb.4:
	v_mul_f32_e32 v80, 0xbeb58ec6, v61
	v_mul_f32_e32 v82, 0xbf3f9e67, v56
	;; [unrolled: 1-line block ×5, first 2 shown]
	v_fmamk_f32 v28, v185, 0x3f6f5d39, v80
	v_fmamk_f32 v29, v186, 0xbf29c268, v82
	v_mul_f32_e32 v214, 0xbf788fa5, v59
	v_mul_f32_e32 v216, 0x3f29c268, v165
	v_fmamk_f32 v71, v31, 0xbeb58ec6, v213
	v_add_f32_e32 v28, v25, v28
	v_mul_f32_e32 v218, 0x3eedf032, v174
	v_mul_f32_e32 v78, 0xbf788fa5, v61
	v_fmamk_f32 v72, v35, 0xbf3f9e67, v216
	v_add_f32_e32 v71, v24, v71
	v_add_f32_e32 v28, v29, v28
	v_fmamk_f32 v29, v190, 0xbeedf032, v83
	v_mul_f32_e32 v220, 0xbf7e222b, v173
	v_mul_f32_e32 v219, 0x3f116cb1, v62
	v_fmamk_f32 v79, v185, 0x3e750f2a, v78
	v_mul_f32_e32 v81, 0x3f62ad3f, v56
	v_add_f32_e32 v28, v29, v28
	v_fmamk_f32 v29, v191, 0x3f7e222b, v204
	v_mul_f32_e32 v221, 0x3e750f2a, v167
	v_add_f32_e32 v79, v25, v79
	v_fmamk_f32 v222, v186, 0xbeedf032, v81
	v_mul_f32_e32 v223, 0xbf3f9e67, v60
	v_add_f32_e32 v28, v29, v28
	v_fmamk_f32 v29, v189, 0xbe750f2a, v214
	v_fmamk_f32 v224, v55, 0xbf788fa5, v221
	v_mul_f32_e32 v228, 0x3eedf032, v165
	v_fmac_f32_e32 v78, 0xbe750f2a, v185
	v_mul_f32_e32 v230, 0x3f52af12, v173
	v_add_f32_e32 v28, v29, v28
	v_add_f32_e32 v29, v72, v71
	v_fmamk_f32 v71, v39, 0x3f62ad3f, v218
	v_fmamk_f32 v72, v184, 0xbf52af12, v219
	v_add_f32_e32 v78, v25, v78
	v_fmac_f32_e32 v81, 0x3eedf032, v186
	v_mul_f32_e32 v232, 0xbf6f5d39, v167
	v_add_f32_e32 v29, v71, v29
	v_fmamk_f32 v71, v57, 0x3df6dbef, v220
	v_mul_f32_e32 v225, 0xbeb58ec6, v59
	v_add_f32_e32 v78, v81, v78
	v_fmamk_f32 v81, v55, 0xbeb58ec6, v232
	v_add_f32_e32 v67, v24, v67
	v_add_f32_e32 v71, v71, v29
	;; [unrolled: 1-line block ×4, first 2 shown]
	v_fmamk_f32 v72, v190, 0x3f29c268, v223
	v_mul_f32_e32 v79, 0x3f116cb1, v63
	v_add_f32_e32 v71, v224, v71
	v_mul_f32_e32 v222, 0x3f52af12, v168
	v_mul_f32_e32 v224, 0xbe750f2a, v164
	v_add_f32_e32 v28, v72, v28
	v_fmamk_f32 v72, v191, 0xbf52af12, v79
	v_fmac_f32_e32 v223, 0xbf29c268, v190
	v_fmamk_f32 v226, v58, 0x3f116cb1, v222
	v_fmamk_f32 v227, v31, 0xbf788fa5, v224
	v_fma_f32 v224, 0xbf788fa5, v31, -v224
	v_add_f32_e32 v72, v72, v28
	v_fmamk_f32 v229, v189, 0x3f6f5d39, v225
	v_add_f32_e32 v28, v226, v71
	v_add_f32_e32 v71, v24, v227
	v_fmamk_f32 v226, v35, 0x3f62ad3f, v228
	v_mul_f32_e32 v227, 0xbf29c268, v174
	v_add_f32_e32 v78, v223, v78
	v_fmac_f32_e32 v79, 0x3f52af12, v191
	v_fma_f32 v223, 0x3f62ad3f, v35, -v228
	v_add_f32_e32 v71, v226, v71
	v_fmamk_f32 v226, v39, 0xbf3f9e67, v227
	v_add_f32_e32 v72, v229, v72
	v_mul_f32_e32 v229, 0x3df6dbef, v62
	v_add_f32_e32 v78, v79, v78
	v_fmac_f32_e32 v225, 0xbf6f5d39, v189
	v_add_f32_e32 v71, v226, v71
	v_fmamk_f32 v226, v57, 0x3f116cb1, v230
	v_fmamk_f32 v231, v184, 0xbf7e222b, v229
	v_fmac_f32_e32 v229, 0x3f7e222b, v184
	v_add_f32_e32 v78, v225, v78
	v_add_f32_e32 v52, v67, v52
	;; [unrolled: 1-line block ×3, first 2 shown]
	v_mul_f32_e32 v226, 0x3f7e222b, v168
	v_add_f32_e32 v68, v25, v68
	v_mul_f32_e32 v233, 0xbf52af12, v174
	v_add_f32_e32 v44, v52, v44
	v_add_f32_e32 v71, v81, v71
	;; [unrolled: 1-line block ×3, first 2 shown]
	v_fmamk_f32 v224, v58, 0x3df6dbef, v226
	v_fma_f32 v226, 0x3df6dbef, v58, -v226
	v_add_f32_e32 v44, v44, v45
	v_add_f32_e32 v53, v68, v53
	;; [unrolled: 1-line block ×3, first 2 shown]
	v_fma_f32 v81, 0xbf3f9e67, v39, -v227
	v_fmac_f32_e32 v80, 0xbf6f5d39, v185
	v_add_f32_e32 v44, v44, v46
	v_mul_f32_e32 v234, 0x3e750f2a, v173
	v_add_f32_e32 v53, v53, v54
	v_add_f32_e32 v79, v81, v79
	v_fma_f32 v81, 0x3f116cb1, v57, -v230
	v_fma_f32 v230, 0xbeb58ec6, v55, -v232
	v_mul_f32_e32 v232, 0x3f7e222b, v165
	v_add_f32_e32 v44, v44, v47
	v_add_f32_e32 v80, v25, v80
	;; [unrolled: 1-line block ×4, first 2 shown]
	v_mul_f32_e32 v229, 0xbf29c268, v164
	v_fmac_f32_e32 v82, 0x3f29c268, v186
	v_mul_f32_e32 v236, 0x3eedf032, v167
	v_add_f32_e32 v78, v230, v81
	v_add_f32_e32 v48, v53, v48
	v_fma_f32 v230, 0xbf3f9e67, v31, -v229
	v_add_f32_e32 v40, v44, v40
	v_add_f32_e32 v80, v82, v80
	;; [unrolled: 1-line block ×3, first 2 shown]
	v_fmac_f32_e32 v83, 0x3eedf032, v190
	v_add_f32_e32 v226, v24, v230
	v_fma_f32 v230, 0x3df6dbef, v35, -v232
	v_fma_f32 v213, 0xbeb58ec6, v31, -v213
	v_add_f32_e32 v45, v48, v49
	v_add_f32_e32 v40, v40, v41
	v_mul_f32_e32 v228, 0xbf29c268, v185
	v_add_f32_e32 v226, v230, v226
	v_fma_f32 v230, 0x3f116cb1, v39, -v233
	v_add_f32_e32 v80, v83, v80
	v_fmac_f32_e32 v204, 0xbf7e222b, v191
	v_add_f32_e32 v83, v24, v213
	v_fma_f32 v213, 0xbf3f9e67, v35, -v216
	v_add_f32_e32 v226, v230, v226
	v_fma_f32 v230, 0xbf788fa5, v57, -v234
	v_mul_f32_e32 v185, 0xbf7e222b, v185
	v_add_f32_e32 v45, v45, v50
	v_add_f32_e32 v36, v40, v36
	;; [unrolled: 1-line block ×4, first 2 shown]
	v_fma_f32 v226, 0x3f62ad3f, v55, -v236
	v_mul_f32_e32 v230, 0xbf6f5d39, v168
	v_mul_f32_e32 v224, 0x3f7e222b, v186
	v_add_f32_e32 v204, v204, v80
	v_fmac_f32_e32 v214, 0x3e750f2a, v189
	v_add_f32_e32 v82, v226, v82
	v_fma_f32 v216, 0xbeb58ec6, v58, -v230
	v_add_f32_e32 v83, v213, v83
	v_fma_f32 v213, 0x3f62ad3f, v39, -v218
	v_mul_f32_e32 v186, 0xbe750f2a, v186
	v_add_f32_e32 v42, v45, v42
	v_add_f32_e32 v80, v216, v82
	v_fmamk_f32 v82, v61, 0x3df6dbef, v185
	v_add_f32_e32 v36, v36, v37
	v_fmac_f32_e32 v229, 0xbf3f9e67, v31
	v_mul_f32_e32 v85, 0x3f116cb1, v61
	v_mul_f32_e32 v227, 0xbf52af12, v190
	v_add_f32_e32 v204, v214, v204
	v_add_f32_e32 v83, v213, v83
	v_fma_f32 v213, 0x3df6dbef, v57, -v220
	v_add_f32_e32 v82, v25, v82
	v_fmamk_f32 v214, v56, 0xbf788fa5, v186
	v_mul_f32_e32 v190, 0x3f6f5d39, v190
	v_mul_f32_e32 v73, 0x3f62ad3f, v31
	v_mul_f32_e32 v86, 0x3f62ad3f, v61
	v_add_f32_e32 v43, v42, v43
	v_add_f32_e32 v32, v36, v32
	;; [unrolled: 1-line block ×3, first 2 shown]
	v_fmac_f32_e32 v232, 0x3df6dbef, v35
	v_mul_f32_e32 v84, 0x3f116cb1, v31
	v_mul_f32_e32 v145, 0xbeb58ec6, v56
	v_add_f32_e32 v72, v231, v72
	v_fmamk_f32 v223, v61, 0xbf3f9e67, v228
	v_mul_f32_e32 v231, 0x3e750f2a, v191
	v_fmac_f32_e32 v219, 0x3f52af12, v184
	v_add_f32_e32 v213, v213, v83
	v_fma_f32 v216, 0xbf788fa5, v55, -v221
	v_add_f32_e32 v82, v214, v82
	v_fmamk_f32 v214, v60, 0xbeb58ec6, v190
	v_mul_f32_e32 v191, 0x3eedf032, v191
	v_mul_f32_e32 v164, 0xbf7e222b, v164
	v_add_f32_e32 v85, v188, v85
	v_mul_f32_e32 v88, 0x3f116cb1, v35
	v_mul_f32_e32 v89, 0x3f116cb1, v56
	v_add_f32_e32 v86, v159, v86
	v_sub_f32_e32 v54, v73, v66
	v_add_f32_e32 v41, v43, v51
	v_fma_f32 v43, 0xbf3f9e67, v61, -v228
	v_add_f32_e32 v32, v32, v30
	v_add_f32_e32 v30, v232, v36
	v_fma_f32 v36, 0x3df6dbef, v61, -v185
	v_mul_f32_e32 v87, 0xbeb58ec6, v35
	v_mul_f32_e32 v195, 0xbf788fa5, v60
	v_add_f32_e32 v223, v25, v223
	v_fmamk_f32 v225, v56, 0x3df6dbef, v224
	v_add_f32_e32 v83, v219, v204
	v_add_f32_e32 v204, v216, v213
	;; [unrolled: 1-line block ×3, first 2 shown]
	v_fmamk_f32 v213, v63, 0x3f62ad3f, v191
	v_fma_f32 v214, 0x3f116cb1, v58, -v222
	v_fma_f32 v216, 0x3df6dbef, v31, -v164
	v_mul_f32_e32 v165, 0xbe750f2a, v165
	v_add_f32_e32 v85, v25, v85
	v_add_f32_e32 v145, v187, v145
	v_sub_f32_e32 v84, v84, v176
	v_mul_f32_e32 v192, 0x3df6dbef, v39
	v_mul_f32_e32 v193, 0x3df6dbef, v60
	v_add_f32_e32 v68, v25, v86
	v_add_f32_e32 v89, v152, v89
	;; [unrolled: 1-line block ×3, first 2 shown]
	v_sub_f32_e32 v53, v88, v69
	v_add_f32_e32 v40, v25, v43
	v_fmac_f32_e32 v164, 0x3df6dbef, v31
	v_add_f32_e32 v25, v25, v36
	v_fma_f32 v31, 0xbf788fa5, v56, -v186
	v_mul_f32_e32 v194, 0xbf788fa5, v39
	v_mul_f32_e32 v199, 0xbf3f9e67, v63
	v_add_f32_e32 v223, v225, v223
	v_fmamk_f32 v225, v60, 0x3f116cb1, v227
	v_add_f32_e32 v213, v213, v82
	v_add_f32_e32 v82, v214, v204
	;; [unrolled: 1-line block ×3, first 2 shown]
	v_fma_f32 v214, 0xbf788fa5, v35, -v165
	v_mul_f32_e32 v174, 0x3f6f5d39, v174
	v_add_f32_e32 v85, v145, v85
	v_add_f32_e32 v145, v181, v195
	;; [unrolled: 1-line block ×3, first 2 shown]
	v_sub_f32_e32 v87, v87, v175
	v_add_f32_e32 v38, v41, v38
	v_fma_f32 v43, 0x3df6dbef, v56, -v224
	v_mul_f32_e32 v196, 0xbeb58ec6, v57
	v_mul_f32_e32 v197, 0xbeb58ec6, v63
	v_add_f32_e32 v66, v89, v68
	v_add_f32_e32 v67, v160, v193
	;; [unrolled: 1-line block ×3, first 2 shown]
	v_sub_f32_e32 v52, v192, v146
	v_add_f32_e32 v24, v24, v164
	v_fmac_f32_e32 v165, 0xbf788fa5, v35
	v_add_f32_e32 v25, v31, v25
	v_fma_f32 v31, 0xbeb58ec6, v60, -v190
	v_mul_f32_e32 v198, 0xbf3f9e67, v57
	v_mul_f32_e32 v203, 0x3df6dbef, v59
	v_add_f32_e32 v81, v225, v223
	v_fmamk_f32 v223, v63, 0xbf788fa5, v231
	v_mul_f32_e32 v225, 0x3eedf032, v189
	v_add_f32_e32 v188, v214, v204
	v_fma_f32 v204, 0xbeb58ec6, v39, -v174
	v_mul_f32_e32 v173, 0x3eedf032, v173
	v_add_f32_e32 v85, v145, v85
	v_add_f32_e32 v145, v182, v199
	;; [unrolled: 1-line block ×3, first 2 shown]
	v_sub_f32_e32 v87, v194, v177
	v_add_f32_e32 v33, v38, v33
	v_add_f32_e32 v37, v43, v40
	v_fma_f32 v38, 0x3f116cb1, v60, -v227
	v_fmac_f32_e32 v233, 0x3f116cb1, v39
	v_mul_f32_e32 v200, 0xbf3f9e67, v55
	v_mul_f32_e32 v201, 0xbf3f9e67, v59
	v_add_f32_e32 v54, v67, v66
	v_add_f32_e32 v48, v161, v197
	;; [unrolled: 1-line block ×3, first 2 shown]
	v_sub_f32_e32 v45, v196, v151
	v_add_f32_e32 v24, v165, v24
	v_fmac_f32_e32 v174, 0xbeb58ec6, v39
	v_add_f32_e32 v25, v31, v25
	v_fma_f32 v31, 0x3f62ad3f, v63, -v191
	v_mul_f32_e32 v202, 0x3df6dbef, v55
	v_mul_f32_e32 v217, 0x3f62ad3f, v62
	v_add_f32_e32 v81, v223, v81
	v_fmamk_f32 v223, v59, 0x3f62ad3f, v225
	v_mul_f32_e32 v189, 0xbf52af12, v189
	v_add_f32_e32 v188, v204, v188
	v_fma_f32 v176, 0x3f62ad3f, v57, -v173
	v_mul_f32_e32 v167, 0xbf52af12, v167
	v_add_f32_e32 v85, v145, v85
	v_add_f32_e32 v145, v183, v203
	;; [unrolled: 1-line block ×3, first 2 shown]
	v_sub_f32_e32 v87, v198, v178
	v_add_f32_e32 v33, v33, v34
	v_add_f32_e32 v34, v38, v37
	v_fma_f32 v37, 0xbf788fa5, v63, -v231
	v_add_f32_e32 v30, v233, v30
	v_fmac_f32_e32 v234, 0xbf788fa5, v57
	v_mul_f32_e32 v205, 0xbf788fa5, v58
	v_mul_f32_e32 v206, 0xbf788fa5, v62
	v_add_f32_e32 v46, v48, v54
	v_add_f32_e32 v48, v162, v201
	;; [unrolled: 1-line block ×3, first 2 shown]
	v_sub_f32_e32 v45, v200, v157
	v_add_f32_e32 v24, v174, v24
	v_fmac_f32_e32 v173, 0x3f62ad3f, v57
	v_add_f32_e32 v25, v31, v25
	v_mul_u32_u24_e32 v31, 52, v211
	v_mul_f32_e32 v215, 0x3f62ad3f, v58
	v_add_f32_e32 v81, v223, v81
	v_mul_f32_e32 v223, 0xbf6f5d39, v184
	v_fmamk_f32 v218, v59, 0x3f116cb1, v189
	v_mul_f32_e32 v184, 0xbf29c268, v184
	v_add_f32_e32 v175, v176, v188
	v_fma_f32 v176, 0x3f116cb1, v55, -v167
	v_mul_f32_e32 v168, 0xbf29c268, v168
	v_add_f32_e32 v145, v145, v85
	v_add_f32_e32 v177, v180, v217
	;; [unrolled: 1-line block ×3, first 2 shown]
	v_sub_f32_e32 v179, v202, v179
	v_add_f32_e32 v34, v37, v34
	v_fma_f32 v37, 0x3f62ad3f, v59, -v225
	v_add_f32_e32 v30, v234, v30
	v_fmac_f32_e32 v236, 0x3f62ad3f, v55
	v_add_f32_e32 v46, v48, v46
	v_add_f32_e32 v47, v163, v206
	;; [unrolled: 1-line block ×3, first 2 shown]
	v_sub_f32_e32 v45, v205, v158
	v_fma_f32 v36, 0x3f116cb1, v59, -v189
	v_add_f32_e32 v24, v173, v24
	v_fmac_f32_e32 v167, 0x3f116cb1, v55
	v_or_b32_e32 v31, v31, v210
	v_add_f32_e32 v213, v218, v213
	v_fmamk_f32 v187, v62, 0xbf3f9e67, v184
	v_add_f32_e32 v175, v176, v175
	v_fma_f32 v176, 0xbf3f9e67, v58, -v168
	v_add_f32_e32 v87, v177, v145
	v_add_f32_e32 v145, v179, v178
	v_sub_f32_e32 v159, v215, v166
	v_fmamk_f32 v235, v62, 0xbeb58ec6, v223
	v_add_f32_e32 v34, v37, v34
	v_fma_f32 v35, 0xbeb58ec6, v62, -v223
	v_add_f32_e32 v30, v236, v30
	v_fmac_f32_e32 v230, 0xbeb58ec6, v58
	v_add_f32_e32 v42, v47, v46
	v_add_f32_e32 v41, v45, v44
	;; [unrolled: 1-line block ×3, first 2 shown]
	v_fma_f32 v37, 0xbf3f9e67, v62, -v184
	v_add_f32_e32 v38, v167, v24
	v_fmac_f32_e32 v168, 0xbf3f9e67, v58
	v_lshlrev_b32_e32 v39, 3, v31
	v_add_f32_e32 v85, v187, v213
	v_add_f32_e32 v84, v176, v175
	v_add_f32_e32 v86, v159, v145
	v_add_f32_e32 v81, v235, v81
	v_add_f32_e32 v25, v35, v34
	v_add_f32_e32 v24, v230, v30
	v_add_f32_e32 v31, v37, v36
	v_add_f32_e32 v30, v168, v38
	ds_write2_b64 v39, v[32:33], v[41:42] offset1:4
	ds_write2_b64 v39, v[86:87], v[84:85] offset0:8 offset1:12
	ds_write2_b64 v39, v[82:83], v[80:81] offset0:16 offset1:20
	;; [unrolled: 1-line block ×5, first 2 shown]
	ds_write_b64 v39, v[147:148] offset:384
.LBB0_5:
	s_or_b32 exec_lo, exec_lo, s0
	v_lshlrev_b32_e32 v52, 3, v209
	s_waitcnt lgkmcnt(0)
	s_barrier
	buffer_gl0_inv
	v_and_b32_e32 v24, 0xff, v149
	global_load_dwordx2 v[145:146], v52, s[14:15] offset:400
	v_mov_b32_e32 v25, 0x4ec5
	v_add_nc_u32_e32 v227, 0x1000, v208
	v_and_b32_e32 v37, 0xff, v156
	v_mul_lo_u16 v24, 0x4f, v24
	v_mov_b32_e32 v53, 3
	v_mul_u32_u24_sdwa v36, v150, v25 dst_sel:DWORD dst_unused:UNUSED_PAD src0_sel:WORD_0 src1_sel:DWORD
	ds_read2_b64 v[32:35], v227 offset0:112 offset1:164
	v_mul_lo_u16 v39, 0x4f, v37
	v_lshrrev_b16 v24, 12, v24
	ds_read2_b64 v[28:31], v208 offset1:52
	v_lshrrev_b32_e32 v36, 20, v36
	v_mul_u32_u24_sdwa v40, v155, v25 dst_sel:DWORD dst_unused:UNUSED_PAD src0_sel:WORD_0 src1_sel:DWORD
	v_mul_u32_u24_sdwa v41, v154, v25 dst_sel:DWORD dst_unused:UNUSED_PAD src0_sel:WORD_0 src1_sel:DWORD
	v_mul_lo_u16 v38, v24, 52
	v_mul_u32_u24_sdwa v42, v153, v25 dst_sel:DWORD dst_unused:UNUSED_PAD src0_sel:WORD_0 src1_sel:DWORD
	v_mul_lo_u16 v36, v36, 52
	v_mul_u32_u24_sdwa v37, v171, v25 dst_sel:DWORD dst_unused:UNUSED_PAD src0_sel:WORD_0 src1_sel:DWORD
	v_add_nc_u32_e32 v24, 0x1400, v208
	v_sub_nc_u16 v38, v149, v38
	v_add_nc_u32_e32 v229, 0x400, v208
	v_sub_nc_u16 v36, v150, v36
	v_add_nc_u32_e32 v228, 0x1800, v208
	v_add_nc_u32_e32 v230, 0x800, v208
	v_lshlrev_b32_sdwa v214, v53, v38 dst_sel:DWORD dst_unused:UNUSED_PAD src0_sel:DWORD src1_sel:BYTE_0
	v_lshrrev_b16 v38, 12, v39
	v_lshlrev_b32_sdwa v213, v53, v36 dst_sel:DWORD dst_unused:UNUSED_PAD src0_sel:DWORD src1_sel:WORD_0
	v_mul_u32_u24_sdwa v36, v169, v25 dst_sel:DWORD dst_unused:UNUSED_PAD src0_sel:WORD_0 src1_sel:DWORD
	v_add_nc_u32_e32 v231, 0xc00, v208
	global_load_dwordx2 v[151:152], v214, s[14:15] offset:400
	v_mul_lo_u16 v46, v38, 52
	global_load_dwordx2 v[149:150], v213, s[14:15] offset:400
	v_mul_u32_u24_sdwa v38, v170, v25 dst_sel:DWORD dst_unused:UNUSED_PAD src0_sel:WORD_0 src1_sel:DWORD
	v_add_nc_u32_e32 v232, 0x1c00, v208
	s_add_u32 s4, s12, 0x2700
	s_addc_u32 s5, s13, 0
	s_waitcnt vmcnt(2) lgkmcnt(1)
	v_mul_f32_e32 v45, v34, v146
	v_mul_f32_e32 v44, v35, v146
	;; [unrolled: 1-line block ×4, first 2 shown]
	v_fmac_f32_e32 v45, v35, v145
	v_sub_nc_u16 v35, v156, v46
	v_fmac_f32_e32 v43, v33, v145
	v_fma_f32 v33, v34, v145, -v44
	v_fma_f32 v32, v32, v145, -v39
	v_mul_u32_u24_sdwa v39, v95, v25 dst_sel:DWORD dst_unused:UNUSED_PAD src0_sel:WORD_0 src1_sel:DWORD
	v_lshlrev_b32_sdwa v218, v53, v35 dst_sel:DWORD dst_unused:UNUSED_PAD src0_sel:DWORD src1_sel:BYTE_0
	v_lshrrev_b32_e32 v25, 20, v40
	s_waitcnt lgkmcnt(0)
	v_sub_f32_e32 v71, v30, v33
	v_sub_f32_e32 v72, v31, v45
	;; [unrolled: 1-line block ×3, first 2 shown]
	global_load_dwordx2 v[159:160], v218, s[14:15] offset:400
	v_mul_lo_u16 v25, v25, 52
	v_fma_f32 v80, v30, 2.0, -v71
	v_lshrrev_b32_e32 v30, 20, v37
	v_fma_f32 v81, v31, 2.0, -v72
	v_lshrrev_b32_e32 v31, 20, v36
	v_sub_nc_u16 v32, v155, v25
	v_lshrrev_b32_e32 v25, 20, v39
	v_lshrrev_b32_e32 v33, 20, v38
	;; [unrolled: 1-line block ×3, first 2 shown]
	v_sub_f32_e32 v63, v29, v43
	v_fma_f32 v78, v28, 2.0, -v62
	v_lshrrev_b32_e32 v28, 20, v42
	v_mul_lo_u16 v30, v30, 52
	v_mul_lo_u16 v31, v31, 52
	;; [unrolled: 1-line block ×4, first 2 shown]
	v_fma_f32 v79, v29, 2.0, -v63
	v_mul_lo_u16 v29, v34, 52
	v_mul_lo_u16 v28, v28, 52
	v_sub_nc_u16 v30, v171, v30
	v_sub_nc_u16 v31, v169, v31
	;; [unrolled: 1-line block ×6, first 2 shown]
	v_lshlrev_b32_sdwa v222, v53, v30 dst_sel:DWORD dst_unused:UNUSED_PAD src0_sel:DWORD src1_sel:WORD_0
	v_lshlrev_b32_sdwa v221, v53, v31 dst_sel:DWORD dst_unused:UNUSED_PAD src0_sel:DWORD src1_sel:WORD_0
	;; [unrolled: 1-line block ×7, first 2 shown]
	s_clause 0x6
	global_load_dwordx2 v[167:168], v222, s[14:15] offset:400
	global_load_dwordx2 v[165:166], v221, s[14:15] offset:400
	;; [unrolled: 1-line block ×7, first 2 shown]
	v_add_nc_u32_e32 v25, 0x2000, v208
	ds_read2_b64 v[28:31], v24 offset0:88 offset1:140
	ds_read2_b64 v[32:35], v208 offset0:104 offset1:156
	;; [unrolled: 1-line block ×10, first 2 shown]
	s_waitcnt vmcnt(0) lgkmcnt(0)
	s_barrier
	buffer_gl0_inv
	ds_write2_b64 v208, v[78:79], v[62:63] offset1:52
	ds_write2_b64 v208, v[80:81], v[71:72] offset0:104 offset1:156
	v_lshrrev_b32_e32 v36, 21, v36
	v_lshrrev_b32_e32 v37, 21, v37
	v_mul_lo_u16 v36, 0x68, v36
	v_mul_f32_e32 v62, v29, v152
	v_mul_f32_e32 v63, v28, v152
	v_mul_lo_u16 v37, 0x68, v37
	v_sub_nc_u16 v82, v169, v36
	v_fma_f32 v62, v28, v151, -v62
	v_fmac_f32_e32 v63, v29, v151
	v_lshrrev_b32_e32 v36, 21, v39
	v_sub_nc_u16 v81, v171, v37
	v_lshlrev_b32_sdwa v224, v53, v82 dst_sel:DWORD dst_unused:UNUSED_PAD src0_sel:DWORD src1_sel:WORD_0
	v_sub_f32_e32 v28, v32, v62
	v_sub_f32_e32 v29, v33, v63
	v_add_nc_u32_e32 v62, 0x400, v214
	v_mul_lo_u16 v36, 0x68, v36
	v_lshlrev_b32_sdwa v223, v53, v81 dst_sel:DWORD dst_unused:UNUSED_PAD src0_sel:DWORD src1_sel:WORD_0
	v_fma_f32 v32, v32, 2.0, -v28
	v_fma_f32 v33, v33, 2.0, -v29
	v_sub_nc_u16 v83, v95, v36
	v_lshrrev_b32_e32 v36, 21, v38
	ds_write2_b64 v62, v[32:33], v[28:29] offset0:80 offset1:132
	v_add_nc_u32_e32 v32, 0x800, v218
	v_lshlrev_b32_sdwa v225, v53, v83 dst_sel:DWORD dst_unused:UNUSED_PAD src0_sel:DWORD src1_sel:WORD_0
	v_mul_lo_u16 v36, 0x68, v36
	v_sub_nc_u16 v84, v170, v36
	v_lshlrev_b32_sdwa v226, v53, v84 dst_sel:DWORD dst_unused:UNUSED_PAD src0_sel:DWORD src1_sel:WORD_0
	v_add_nc_u32_e32 v53, 0x1c00, v226
	v_mul_f32_e32 v28, v31, v160
	v_mul_f32_e32 v29, v30, v160
	v_fma_f32 v28, v30, v159, -v28
	v_fmac_f32_e32 v29, v31, v159
	v_sub_f32_e32 v28, v34, v28
	v_sub_f32_e32 v29, v35, v29
	v_fma_f32 v30, v34, 2.0, -v28
	v_fma_f32 v31, v35, 2.0, -v29
	ds_write2_b64 v32, v[30:31], v[28:29] offset0:56 offset1:108
	v_add_nc_u32_e32 v32, 0x800, v222
	v_mul_f32_e32 v28, v45, v168
	v_mul_f32_e32 v29, v44, v168
	v_fma_f32 v28, v44, v167, -v28
	v_fmac_f32_e32 v29, v45, v167
	v_sub_f32_e32 v28, v40, v28
	v_sub_f32_e32 v29, v41, v29
	v_fma_f32 v30, v40, 2.0, -v28
	v_fma_f32 v31, v41, 2.0, -v29
	ds_write2_b64 v32, v[30:31], v[28:29] offset0:160 offset1:212
	v_mul_f32_e32 v28, v47, v166
	v_mul_f32_e32 v29, v46, v166
	v_add_nc_u32_e32 v32, 0x1000, v221
	v_fma_f32 v28, v46, v165, -v28
	v_fmac_f32_e32 v29, v47, v165
	v_sub_f32_e32 v28, v42, v28
	v_sub_f32_e32 v29, v43, v29
	v_fma_f32 v30, v42, 2.0, -v28
	v_fma_f32 v31, v43, 2.0, -v29
	ds_write2_b64 v32, v[30:31], v[28:29] offset0:8 offset1:60
	v_mul_f32_e32 v28, v55, v164
	v_mul_f32_e32 v29, v54, v164
	v_add_nc_u32_e32 v32, 0x1000, v220
	;; [unrolled: 10-line block ×7, first 2 shown]
	v_fma_f32 v28, v179, v149, -v28
	v_fmac_f32_e32 v29, v180, v149
	v_sub_f32_e32 v28, v175, v28
	v_sub_f32_e32 v29, v176, v29
	v_fma_f32 v30, v175, 2.0, -v28
	v_fma_f32 v31, v176, 2.0, -v29
	ds_write2_b64 v32, v[30:31], v[28:29] offset0:120 offset1:172
	v_lshlrev_b32_e32 v28, 3, v172
	s_waitcnt lgkmcnt(0)
	s_barrier
	buffer_gl0_inv
	s_clause 0x1
	global_load_dwordx4 v[28:31], v28, s[14:15] offset:816
	global_load_dwordx4 v[32:35], v77, s[14:15] offset:816
	ds_read2_b64 v[40:43], v230 offset0:160 offset1:212
	ds_read2_b64 v[54:57], v208 offset1:52
	s_waitcnt vmcnt(1) lgkmcnt(1)
	v_mul_f32_e32 v44, v41, v29
	v_mul_f32_e32 v45, v40, v29
	s_waitcnt vmcnt(0)
	v_mul_f32_e32 v78, v42, v33
	v_fma_f32 v44, v40, v28, -v44
	v_mul_f32_e32 v40, v43, v33
	v_fmac_f32_e32 v45, v41, v28
	v_fmac_f32_e32 v78, v43, v32
	v_fma_f32 v73, v42, v32, -v40
	ds_read2_b64 v[40:43], v228 offset0:64 offset1:116
	s_waitcnt lgkmcnt(1)
	v_add_f32_e32 v36, v55, v45
	s_waitcnt lgkmcnt(0)
	v_mul_f32_e32 v46, v41, v31
	v_mul_f32_e32 v80, v42, v35
	v_fma_f32 v46, v40, v30, -v46
	v_mul_f32_e32 v40, v40, v31
	v_fmac_f32_e32 v80, v43, v34
	v_sub_f32_e32 v86, v44, v46
	v_fmac_f32_e32 v40, v41, v30
	v_mul_f32_e32 v41, v43, v35
	v_add_f32_e32 v63, v36, v40
	v_add_f32_e32 v36, v54, v44
	;; [unrolled: 1-line block ×3, first 2 shown]
	v_sub_f32_e32 v85, v45, v40
	v_fma_f32 v79, v42, v34, -v41
	v_add_f32_e32 v62, v36, v46
	v_add_f32_e32 v36, v44, v46
	v_fma_f32 v55, -0.5, v37, v55
	v_lshlrev_b16 v37, 4, v82
	v_fma_f32 v54, -0.5, v36, v54
	v_lshlrev_b16 v36, 4, v81
	v_and_b32_e32 v38, 0xffff, v37
	v_lshlrev_b16 v37, 4, v83
	v_fmamk_f32 v72, v86, 0xbf5db3d7, v55
	v_fmamk_f32 v71, v85, 0x3f5db3d7, v54
	v_and_b32_e32 v36, 0xffff, v36
	v_fmac_f32_e32 v54, 0xbf5db3d7, v85
	v_and_b32_e32 v40, 0xffff, v37
	v_lshlrev_b16 v37, 4, v84
	v_fmac_f32_e32 v55, 0x3f5db3d7, v86
	v_add_co_u32 v36, s0, s14, v36
	v_and_b32_e32 v42, 0xffff, v37
	v_add_co_ci_u32_e64 v37, null, s15, 0, s0
	v_add_co_u32 v38, s0, s14, v38
	v_add_co_ci_u32_e64 v39, null, s15, 0, s0
	v_add_co_u32 v40, s0, s14, v40
	;; [unrolled: 2-line block ×3, first 2 shown]
	v_add_co_ci_u32_e64 v59, null, s15, 0, s0
	s_clause 0x3
	global_load_dwordx4 v[48:51], v[36:37], off offset:816
	global_load_dwordx4 v[44:47], v[38:39], off offset:816
	;; [unrolled: 1-line block ×4, first 2 shown]
	ds_read2_b64 v[58:61], v227 offset0:8 offset1:60
	ds_read2_b64 v[66:69], v208 offset0:104 offset1:156
	;; [unrolled: 1-line block ×9, first 2 shown]
	s_waitcnt vmcnt(0) lgkmcnt(0)
	s_barrier
	buffer_gl0_inv
	ds_write_b64 v208, v[54:55] offset:1664
	v_add_f32_e32 v54, v56, v73
	v_add_f32_e32 v55, v57, v78
	ds_write_b64 v208, v[71:72] offset:832
	v_add_f32_e32 v54, v54, v79
	v_add_f32_e32 v55, v55, v80
	v_mul_f32_e32 v72, v58, v29
	ds_write2_b64 v208, v[62:63], v[54:55] offset1:52
	v_add_f32_e32 v54, v78, v80
	v_sub_f32_e32 v62, v78, v80
	v_add_f32_e32 v55, v73, v79
	v_fmac_f32_e32 v72, v59, v28
	v_mul_f32_e32 v78, v169, v31
	v_fmac_f32_e32 v57, -0.5, v54
	v_mul_f32_e32 v54, v59, v29
	v_sub_f32_e32 v63, v73, v79
	v_fma_f32 v56, -0.5, v55, v56
	v_fmac_f32_e32 v78, v170, v30
	v_add_f32_e32 v55, v67, v72
	v_fma_f32 v71, v58, v28, -v54
	v_mul_f32_e32 v54, v170, v31
	v_fmamk_f32 v58, v62, 0x3f5db3d7, v56
	v_fmac_f32_e32 v56, 0xbf5db3d7, v62
	v_add_f32_e32 v55, v55, v78
	v_fmamk_f32 v59, v63, 0xbf5db3d7, v57
	v_fma_f32 v73, v169, v30, -v54
	v_add_f32_e32 v54, v66, v71
	v_fmac_f32_e32 v57, 0x3f5db3d7, v63
	v_mul_f32_e32 v63, v60, v33
	v_mul_f32_e32 v80, v171, v35
	v_sub_f32_e32 v85, v72, v78
	v_add_f32_e32 v54, v54, v73
	v_fmac_f32_e32 v63, v61, v32
	v_fmac_f32_e32 v80, v172, v34
	ds_write2_b64 v230, v[56:57], v[54:55] offset0:4 offset1:56
	v_mul_f32_e32 v54, v61, v33
	v_add_f32_e32 v55, v72, v78
	v_add_f32_e32 v57, v69, v63
	v_fma_f32 v62, v60, v32, -v54
	v_mul_f32_e32 v54, v172, v35
	v_fma_f32 v55, -0.5, v55, v67
	v_add_f32_e32 v57, v57, v80
	v_add_f32_e32 v56, v68, v62
	v_fma_f32 v79, v171, v34, -v54
	v_add_f32_e32 v54, v71, v73
	v_sub_f32_e32 v71, v71, v73
	v_add_f32_e32 v56, v56, v79
	v_fma_f32 v54, -0.5, v54, v66
	v_fmamk_f32 v61, v71, 0xbf5db3d7, v55
	v_fmac_f32_e32 v55, 0x3f5db3d7, v71
	v_add_nc_u32_e32 v71, 0x1c00, v225
	v_fmamk_f32 v60, v85, 0x3f5db3d7, v54
	v_fmac_f32_e32 v54, 0xbf5db3d7, v85
	ds_write2_b64 v230, v[56:57], v[60:61] offset0:108 offset1:160
	v_add_f32_e32 v56, v63, v80
	v_add_f32_e32 v57, v62, v79
	v_sub_f32_e32 v60, v63, v80
	v_sub_f32_e32 v61, v62, v79
	v_fmac_f32_e32 v69, -0.5, v56
	v_fma_f32 v68, -0.5, v57, v68
	v_fmamk_f32 v57, v61, 0xbf5db3d7, v69
	v_fmamk_f32 v56, v60, 0x3f5db3d7, v68
	v_fmac_f32_e32 v68, 0xbf5db3d7, v60
	v_fmac_f32_e32 v69, 0x3f5db3d7, v61
	v_add_nc_u32_e32 v60, 0x1000, v223
	ds_write2_b64 v231, v[56:57], v[54:55] offset0:84 offset1:136
	ds_write_b64 v208, v[68:69] offset:4576
	ds_write_b64 v208, v[58:59] offset:1248
	v_mul_f32_e32 v54, v178, v49
	v_mul_f32_e32 v55, v181, v51
	;; [unrolled: 1-line block ×3, first 2 shown]
	v_fma_f32 v56, v177, v48, -v54
	v_mul_f32_e32 v54, v177, v49
	v_fmac_f32_e32 v55, v182, v50
	v_fma_f32 v57, v181, v50, -v57
	v_fmac_f32_e32 v54, v178, v48
	v_sub_f32_e32 v63, v56, v57
	v_add_f32_e32 v58, v174, v54
	v_sub_f32_e32 v62, v54, v55
	v_add_f32_e32 v59, v54, v55
	v_add_f32_e32 v54, v173, v56
	;; [unrolled: 1-line block ×5, first 2 shown]
	v_fma_f32 v57, -0.5, v59, v174
	v_fma_f32 v56, -0.5, v58, v173
	v_fmamk_f32 v59, v63, 0xbf5db3d7, v57
	v_fmac_f32_e32 v57, 0x3f5db3d7, v63
	v_fmamk_f32 v58, v62, 0x3f5db3d7, v56
	v_fmac_f32_e32 v56, 0xbf5db3d7, v62
	ds_write2_b64 v60, v[54:55], v[58:59] offset0:112 offset1:216
	v_mul_f32_e32 v54, v180, v45
	v_mul_f32_e32 v55, v183, v47
	;; [unrolled: 1-line block ×3, first 2 shown]
	ds_write_b64 v223, v[56:57] offset:6656
	v_fma_f32 v58, v179, v44, -v54
	v_mul_f32_e32 v54, v179, v45
	v_fmac_f32_e32 v55, v184, v46
	v_fma_f32 v59, v183, v46, -v59
	v_fmac_f32_e32 v54, v180, v44
	v_sub_f32_e32 v67, v58, v59
	v_add_f32_e32 v60, v176, v54
	v_sub_f32_e32 v66, v54, v55
	v_add_f32_e32 v61, v54, v55
	v_add_f32_e32 v54, v175, v58
	;; [unrolled: 1-line block ×4, first 2 shown]
	v_fmac_f32_e32 v176, -0.5, v61
	v_add_f32_e32 v54, v54, v59
	v_fma_f32 v175, -0.5, v60, v175
	v_fmamk_f32 v59, v67, 0xbf5db3d7, v176
	v_add_nc_u32_e32 v60, 0x1000, v224
	v_fmac_f32_e32 v176, 0x3f5db3d7, v67
	v_fmamk_f32 v58, v66, 0x3f5db3d7, v175
	v_fmac_f32_e32 v175, 0xbf5db3d7, v66
	ds_write2_b64 v60, v[54:55], v[58:59] offset0:112 offset1:216
	v_mul_f32_e32 v54, v190, v41
	v_mul_f32_e32 v55, v193, v43
	;; [unrolled: 1-line block ×3, first 2 shown]
	ds_write_b64 v224, v[175:176] offset:6656
	v_fma_f32 v58, v189, v40, -v54
	v_mul_f32_e32 v54, v189, v41
	v_fmac_f32_e32 v55, v194, v42
	v_fma_f32 v59, v193, v42, -v59
	v_fmac_f32_e32 v54, v190, v40
	v_sub_f32_e32 v69, v58, v59
	v_add_f32_e32 v60, v186, v54
	v_sub_f32_e32 v68, v54, v55
	v_add_f32_e32 v61, v54, v55
	v_add_f32_e32 v54, v185, v58
	;; [unrolled: 1-line block ×5, first 2 shown]
	v_fma_f32 v59, -0.5, v61, v186
	v_fma_f32 v58, -0.5, v60, v185
	v_fmamk_f32 v61, v69, 0xbf5db3d7, v59
	v_fmac_f32_e32 v59, 0x3f5db3d7, v69
	v_fmamk_f32 v60, v68, 0x3f5db3d7, v58
	v_fmac_f32_e32 v58, 0xbf5db3d7, v68
	ds_write2_b64 v71, v[54:55], v[60:61] offset0:40 offset1:144
	v_mul_f32_e32 v54, v192, v37
	v_mul_f32_e32 v55, v195, v39
	;; [unrolled: 1-line block ×3, first 2 shown]
	ds_write_b64 v225, v[58:59] offset:9152
	v_fma_f32 v60, v191, v36, -v54
	v_mul_f32_e32 v54, v191, v37
	v_fmac_f32_e32 v55, v196, v38
	v_fma_f32 v61, v195, v38, -v61
	v_fmac_f32_e32 v54, v192, v36
	v_sub_f32_e32 v78, v60, v61
	v_add_f32_e32 v71, v188, v54
	v_sub_f32_e32 v72, v54, v55
	v_add_f32_e32 v73, v54, v55
	v_add_f32_e32 v54, v187, v60
	;; [unrolled: 1-line block ×4, first 2 shown]
	v_fmac_f32_e32 v188, -0.5, v73
	v_add_f32_e32 v54, v54, v61
	v_fma_f32 v187, -0.5, v71, v187
	v_fmamk_f32 v61, v78, 0xbf5db3d7, v188
	v_fmac_f32_e32 v188, 0x3f5db3d7, v78
	v_fmamk_f32 v60, v72, 0x3f5db3d7, v187
	v_fmac_f32_e32 v187, 0xbf5db3d7, v72
	ds_write2_b64 v53, v[54:55], v[60:61] offset0:40 offset1:144
	v_add_co_u32 v53, s0, s14, v52
	v_add_co_ci_u32_e64 v54, null, s15, 0, s0
	ds_write_b64 v226, v[187:188] offset:9152
	v_add_co_u32 v55, s0, 0x800, v53
	v_add_co_ci_u32_e64 v56, s0, 0, v54, s0
	s_waitcnt lgkmcnt(0)
	s_barrier
	buffer_gl0_inv
	s_clause 0x3
	global_load_dwordx2 v[169:170], v[55:56], off offset:432
	global_load_dwordx2 v[175:176], v[55:56], off offset:848
	;; [unrolled: 1-line block ×4, first 2 shown]
	ds_read2_b64 v[55:58], v227 offset0:112 offset1:164
	s_waitcnt vmcnt(3) lgkmcnt(0)
	v_mul_f32_e32 v59, v56, v170
	v_mul_f32_e32 v62, v55, v170
	s_waitcnt vmcnt(2)
	v_mul_f32_e32 v67, v57, v176
	v_fma_f32 v61, v55, v169, -v59
	v_mul_f32_e32 v55, v58, v176
	v_fmac_f32_e32 v62, v56, v169
	v_fmac_f32_e32 v67, v58, v175
	v_fma_f32 v63, v57, v175, -v55
	ds_read2_b64 v[55:58], v24 offset0:88 offset1:140
	s_waitcnt vmcnt(1) lgkmcnt(0)
	v_mul_f32_e32 v59, v56, v178
	v_mul_f32_e32 v79, v55, v178
	s_waitcnt vmcnt(0)
	v_mul_f32_e32 v81, v57, v174
	v_fma_f32 v73, v55, v177, -v59
	v_add_co_u32 v59, s0, 0x1000, v53
	v_add_co_ci_u32_e64 v60, s0, 0, v54, s0
	s_clause 0x1
	global_load_dwordx2 v[181:182], v[59:60], off offset:48
	global_load_dwordx2 v[179:180], v[59:60], off offset:464
	v_mul_f32_e32 v55, v58, v174
	v_fmac_f32_e32 v79, v56, v177
	v_fmac_f32_e32 v81, v58, v173
	v_fma_f32 v80, v57, v173, -v55
	ds_read2_b64 v[55:58], v228 offset0:64 offset1:116
	s_waitcnt vmcnt(1) lgkmcnt(0)
	v_mul_f32_e32 v66, v56, v182
	v_mul_f32_e32 v87, v55, v182
	s_waitcnt vmcnt(0)
	v_mul_f32_e32 v89, v57, v180
	v_fma_f32 v86, v55, v181, -v66
	v_mul_f32_e32 v55, v58, v180
	v_fmac_f32_e32 v87, v56, v181
	v_fmac_f32_e32 v89, v58, v179
	v_fma_f32 v88, v57, v179, -v55
	ds_read2_b64 v[55:58], v228 offset0:168 offset1:220
	s_waitcnt lgkmcnt(0)
	v_mul_f32_e32 v66, v56, v170
	v_mul_f32_e32 v186, v55, v170
	v_mul_f32_e32 v188, v57, v176
	v_fma_f32 v95, v55, v169, -v66
	v_mul_f32_e32 v55, v58, v176
	v_fmac_f32_e32 v186, v56, v169
	v_fmac_f32_e32 v188, v58, v175
	v_fma_f32 v187, v57, v175, -v55
	ds_read2_b64 v[55:58], v25 offset0:16 offset1:68
	s_waitcnt lgkmcnt(0)
	v_mul_f32_e32 v66, v56, v178
	v_mul_f32_e32 v194, v55, v178
	;; [unrolled: 10-line block ×3, first 2 shown]
	v_mul_f32_e32 v204, v57, v180
	v_fma_f32 v201, v55, v181, -v66
	v_mul_f32_e32 v55, v58, v180
	v_fmac_f32_e32 v202, v56, v181
	v_fmac_f32_e32 v204, v58, v179
	v_fma_f32 v203, v57, v179, -v55
	ds_read2_b64 v[55:58], v208 offset1:52
	s_waitcnt lgkmcnt(0)
	v_sub_f32_e32 v61, v55, v61
	v_sub_f32_e32 v62, v56, v62
	v_sub_f32_e32 v66, v57, v63
	v_sub_f32_e32 v67, v58, v67
	v_fma_f32 v68, v55, 2.0, -v61
	v_fma_f32 v69, v56, 2.0, -v62
	v_fma_f32 v71, v57, 2.0, -v66
	v_fma_f32 v72, v58, 2.0, -v67
	ds_read2_b64 v[55:58], v208 offset0:104 offset1:156
	s_waitcnt lgkmcnt(0)
	v_sub_f32_e32 v78, v55, v73
	v_sub_f32_e32 v79, v56, v79
	v_sub_f32_e32 v80, v57, v80
	v_sub_f32_e32 v81, v58, v81
	v_fma_f32 v82, v55, 2.0, -v78
	v_fma_f32 v83, v56, 2.0, -v79
	v_fma_f32 v84, v57, 2.0, -v80
	v_fma_f32 v85, v58, 2.0, -v81
	ds_read2_b64 v[55:58], v229 offset0:80 offset1:132
	;; [unrolled: 10-line block ×5, first 2 shown]
	s_waitcnt lgkmcnt(0)
	s_barrier
	buffer_gl0_inv
	ds_write_b64 v208, v[61:62] offset:2496
	ds_write2_b64 v208, v[68:69], v[71:72] offset1:52
	ds_write2_b64 v230, v[66:67], v[78:79] offset0:108 offset1:160
	ds_write2_b64 v208, v[82:83], v[84:85] offset0:104 offset1:156
	ds_write2_b64 v231, v[80:81], v[86:87] offset0:84 offset1:136
	ds_write2_b64 v229, v[171:172], v[183:184] offset0:80 offset1:132
	ds_write2_b64 v227, v[88:89], v[189:190] offset0:60 offset1:112
	ds_write2_b64 v227, v[191:192], v[197:198] offset0:164 offset1:216
	v_sub_f32_e32 v201, v55, v201
	v_sub_f32_e32 v202, v56, v202
	;; [unrolled: 1-line block ×4, first 2 shown]
	v_fma_f32 v55, v55, 2.0, -v201
	v_fma_f32 v56, v56, 2.0, -v202
	;; [unrolled: 1-line block ×4, first 2 shown]
	ds_write2_b64 v232, v[187:188], v[193:194] offset0:92 offset1:144
	ds_write2_b64 v228, v[199:200], v[55:56] offset0:12 offset1:64
	;; [unrolled: 1-line block ×4, first 2 shown]
	ds_write_b64 v208, v[203:204] offset:9568
	s_waitcnt lgkmcnt(0)
	s_barrier
	buffer_gl0_inv
	s_clause 0x2
	global_load_dwordx2 v[171:172], v[59:60], off offset:880
	global_load_dwordx2 v[183:184], v[59:60], off offset:1296
	;; [unrolled: 1-line block ×3, first 2 shown]
	v_add_co_u32 v59, s0, 0x1800, v53
	v_add_co_ci_u32_e64 v60, s0, 0, v54, s0
	ds_read2_b64 v[55:58], v227 offset0:112 offset1:164
	v_add_co_u32 v53, s0, 0x2000, v53
	global_load_dwordx2 v[187:188], v[59:60], off offset:80
	v_add_co_ci_u32_e64 v54, s0, 0, v54, s0
	s_waitcnt vmcnt(3) lgkmcnt(0)
	v_mul_f32_e32 v61, v56, v172
	v_mul_f32_e32 v62, v55, v172
	s_waitcnt vmcnt(2)
	v_mul_f32_e32 v66, v57, v184
	v_fma_f32 v61, v55, v171, -v61
	v_mul_f32_e32 v55, v58, v184
	v_fmac_f32_e32 v62, v56, v171
	v_fmac_f32_e32 v66, v58, v183
	v_fma_f32 v63, v57, v183, -v55
	ds_read2_b64 v[55:58], v24 offset0:88 offset1:140
	s_clause 0x3
	global_load_dwordx2 v[195:196], v[59:60], off offset:496
	global_load_dwordx2 v[197:198], v[59:60], off offset:912
	;; [unrolled: 1-line block ×4, first 2 shown]
	s_waitcnt vmcnt(5) lgkmcnt(0)
	v_mul_f32_e32 v67, v56, v186
	v_mul_f32_e32 v69, v55, v186
	s_waitcnt vmcnt(4)
	v_mul_f32_e32 v72, v57, v188
	v_fma_f32 v68, v55, v185, -v67
	v_mul_f32_e32 v55, v58, v188
	v_fmac_f32_e32 v69, v56, v185
	v_fmac_f32_e32 v72, v58, v187
	v_fma_f32 v71, v57, v187, -v55
	ds_read2_b64 v[55:58], v228 offset0:64 offset1:116
	s_waitcnt vmcnt(3) lgkmcnt(0)
	v_mul_f32_e32 v59, v56, v196
	v_mul_f32_e32 v83, v55, v196
	s_waitcnt vmcnt(2)
	v_mul_f32_e32 v85, v57, v198
	v_fma_f32 v73, v55, v195, -v59
	v_mul_f32_e32 v55, v58, v198
	v_fmac_f32_e32 v83, v56, v195
	v_fmac_f32_e32 v85, v58, v197
	v_fma_f32 v84, v57, v197, -v55
	ds_read2_b64 v[55:58], v228 offset0:168 offset1:220
	s_clause 0x3
	global_load_dwordx2 v[203:204], v[53:54], off offset:112
	global_load_dwordx2 v[199:200], v[53:54], off offset:528
	;; [unrolled: 1-line block ×4, first 2 shown]
	s_waitcnt vmcnt(5) lgkmcnt(0)
	v_mul_f32_e32 v59, v56, v192
	v_mul_f32_e32 v206, v55, v192
	s_waitcnt vmcnt(4)
	v_mul_f32_e32 v234, v57, v190
	v_fma_f32 v95, v55, v191, -v59
	v_mul_f32_e32 v55, v58, v190
	v_fmac_f32_e32 v206, v56, v191
	v_fmac_f32_e32 v234, v58, v189
	v_fma_f32 v233, v57, v189, -v55
	ds_read2_b64 v[53:56], v25 offset0:16 offset1:68
	s_waitcnt vmcnt(3) lgkmcnt(0)
	v_mul_f32_e32 v57, v54, v204
	v_mul_f32_e32 v240, v53, v204
	s_waitcnt vmcnt(2)
	v_mul_f32_e32 v242, v55, v200
	v_fma_f32 v239, v53, v203, -v57
	v_mul_f32_e32 v53, v56, v200
	v_fmac_f32_e32 v240, v54, v203
	v_fmac_f32_e32 v242, v56, v199
	v_fma_f32 v241, v55, v199, -v53
	ds_read2_b64 v[53:56], v25 offset0:120 offset1:172
	s_waitcnt vmcnt(1) lgkmcnt(0)
	v_mul_f32_e32 v57, v54, v202
	v_mul_f32_e32 v248, v53, v202
	s_waitcnt vmcnt(0)
	v_mul_f32_e32 v250, v55, v194
	v_fma_f32 v247, v53, v201, -v57
	v_mul_f32_e32 v53, v56, v194
	v_fmac_f32_e32 v248, v54, v201
	v_fmac_f32_e32 v250, v56, v193
	v_fma_f32 v249, v55, v193, -v53
	ds_read2_b64 v[53:56], v208 offset1:52
	s_waitcnt lgkmcnt(0)
	v_sub_f32_e32 v57, v53, v61
	v_sub_f32_e32 v58, v54, v62
	v_sub_f32_e32 v59, v55, v63
	v_sub_f32_e32 v60, v56, v66
	v_fma_f32 v61, v53, 2.0, -v57
	v_fma_f32 v62, v54, 2.0, -v58
	v_fma_f32 v66, v55, 2.0, -v59
	v_fma_f32 v67, v56, 2.0, -v60
	ds_read2_b64 v[53:56], v208 offset0:104 offset1:156
	s_waitcnt lgkmcnt(0)
	v_sub_f32_e32 v68, v53, v68
	v_sub_f32_e32 v69, v54, v69
	v_sub_f32_e32 v71, v55, v71
	v_sub_f32_e32 v72, v56, v72
	v_fma_f32 v78, v53, 2.0, -v68
	v_fma_f32 v79, v54, 2.0, -v69
	v_fma_f32 v80, v55, 2.0, -v71
	v_fma_f32 v81, v56, 2.0, -v72
	ds_read2_b64 v[53:56], v229 offset0:80 offset1:132
	;; [unrolled: 10-line block ×5, first 2 shown]
	s_waitcnt lgkmcnt(0)
	v_sub_f32_e32 v247, v53, v247
	v_sub_f32_e32 v248, v54, v248
	;; [unrolled: 1-line block ×4, first 2 shown]
	v_fma_f32 v53, v53, 2.0, -v247
	v_fma_f32 v54, v54, 2.0, -v248
	;; [unrolled: 1-line block ×4, first 2 shown]
	ds_write_b64 v208, v[57:58] offset:4992
	ds_write2_b64 v208, v[61:62], v[66:67] offset1:52
	ds_write2_b64 v227, v[59:60], v[68:69] offset0:164 offset1:216
	ds_write2_b64 v208, v[78:79], v[80:81] offset0:104 offset1:156
	;; [unrolled: 1-line block ×10, first 2 shown]
	ds_write_b64 v208, v[249:250] offset:9568
	s_waitcnt lgkmcnt(0)
	s_barrier
	buffer_gl0_inv
	s_clause 0x3
	global_load_dwordx2 v[57:58], v52, s[4:5] offset:416
	global_load_dwordx2 v[59:60], v52, s[4:5] offset:832
	global_load_dwordx2 v[61:62], v70, s[4:5]
	global_load_dwordx2 v[66:67], v52, s[4:5]
	ds_read2_b64 v[53:56], v208 offset1:52
	s_waitcnt vmcnt(0) lgkmcnt(0)
	v_mul_f32_e32 v63, v54, v67
	v_mul_f32_e32 v69, v53, v67
	;; [unrolled: 1-line block ×3, first 2 shown]
	v_fma_f32 v68, v53, v66, -v63
	v_mul_f32_e32 v53, v56, v58
	v_add_co_u32 v63, s0, s4, v52
	v_add_co_ci_u32_e64 v95, null, s5, 0, s0
	v_fmac_f32_e32 v69, v54, v66
	v_fma_f32 v66, v55, v57, -v53
	v_fmac_f32_e32 v67, v56, v57
	v_add_co_u32 v57, s0, 0x1000, v63
	v_add_co_ci_u32_e64 v58, s0, 0, v95, s0
	ds_write_b64 v208, v[68:69]
	v_add_co_u32 v68, s0, 0x1800, v63
	v_add_co_ci_u32_e64 v69, s0, 0, v95, s0
	s_clause 0x3
	global_load_dwordx2 v[70:71], v[57:58], off offset:896
	global_load_dwordx2 v[72:73], v[57:58], off offset:1312
	global_load_dwordx2 v[78:79], v[57:58], off offset:1728
	global_load_dwordx2 v[80:81], v[68:69], off offset:96
	ds_read2_b64 v[53:56], v227 offset0:112 offset1:164
	s_waitcnt vmcnt(3) lgkmcnt(0)
	v_mul_f32_e32 v82, v54, v71
	v_mul_f32_e32 v83, v53, v71
	s_waitcnt vmcnt(2)
	v_mul_f32_e32 v71, v55, v73
	v_fma_f32 v82, v53, v70, -v82
	v_mul_f32_e32 v53, v56, v73
	v_fmac_f32_e32 v83, v54, v70
	v_fmac_f32_e32 v71, v56, v72
	v_fma_f32 v70, v55, v72, -v53
	ds_read2_b64 v[53:56], v208 offset0:104 offset1:156
	s_waitcnt lgkmcnt(0)
	v_mul_f32_e32 v72, v54, v60
	v_mul_f32_e32 v73, v53, v60
	v_fma_f32 v72, v53, v59, -v72
	v_fmac_f32_e32 v73, v54, v59
	s_clause 0x3
	global_load_dwordx2 v[59:60], v[57:58], off offset:64
	global_load_dwordx2 v[57:58], v[57:58], off offset:480
	global_load_dwordx2 v[53:54], v52, s[4:5] offset:1248
	global_load_dwordx2 v[84:85], v52, s[4:5] offset:1664
	s_waitcnt vmcnt(1)
	v_mul_f32_e32 v52, v56, v54
	v_mul_f32_e32 v87, v55, v54
	v_fma_f32 v86, v55, v53, -v52
	v_fmac_f32_e32 v87, v56, v53
	ds_read2_b64 v[52:55], v24 offset0:88 offset1:140
	s_waitcnt lgkmcnt(0)
	v_mul_f32_e32 v56, v53, v79
	v_mul_f32_e32 v89, v52, v79
	;; [unrolled: 1-line block ×3, first 2 shown]
	v_fma_f32 v88, v52, v78, -v56
	v_mul_f32_e32 v52, v55, v81
	v_fmac_f32_e32 v89, v53, v78
	v_fmac_f32_e32 v79, v55, v80
	v_fma_f32 v78, v54, v80, -v52
	ds_read2_b64 v[52:55], v229 offset0:80 offset1:132
	s_waitcnt vmcnt(0) lgkmcnt(0)
	v_mul_f32_e32 v56, v53, v85
	v_mul_f32_e32 v81, v52, v85
	v_fma_f32 v80, v52, v84, -v56
	v_fmac_f32_e32 v81, v53, v84
	v_add_co_u32 v84, s0, 0x800, v63
	v_add_co_ci_u32_e64 v85, s0, 0, v95, s0
	s_clause 0x1
	global_load_dwordx2 v[52:53], v[84:85], off offset:32
	global_load_dwordx2 v[205:206], v[68:69], off offset:1760
	s_waitcnt vmcnt(1)
	v_mul_f32_e32 v56, v55, v53
	v_mul_f32_e32 v234, v54, v53
	v_fma_f32 v233, v54, v52, -v56
	v_fmac_f32_e32 v234, v55, v52
	ds_read2_b64 v[52:55], v228 offset0:64 offset1:116
	s_waitcnt lgkmcnt(0)
	v_mul_f32_e32 v56, v53, v62
	v_mul_f32_e32 v236, v52, v62
	v_fma_f32 v235, v52, v61, -v56
	v_fmac_f32_e32 v236, v53, v61
	s_clause 0x5
	global_load_dwordx2 v[52:53], v[68:69], off offset:928
	global_load_dwordx2 v[61:62], v[68:69], off offset:1344
	;; [unrolled: 1-line block ×6, first 2 shown]
	s_waitcnt vmcnt(5)
	v_mul_f32_e32 v56, v55, v53
	v_mul_f32_e32 v69, v54, v53
	v_fma_f32 v68, v54, v52, -v56
	v_fmac_f32_e32 v69, v55, v52
	ds_read2_b64 v[52:55], v230 offset0:56 offset1:108
	s_waitcnt vmcnt(3) lgkmcnt(0)
	v_mul_f32_e32 v56, v53, v238
	v_mul_f32_e32 v244, v52, v238
	s_waitcnt vmcnt(2)
	v_mul_f32_e32 v238, v54, v240
	v_fma_f32 v243, v52, v237, -v56
	v_mul_f32_e32 v52, v55, v240
	v_fmac_f32_e32 v244, v53, v237
	v_fmac_f32_e32 v238, v55, v239
	v_fma_f32 v237, v54, v239, -v52
	ds_read2_b64 v[52:55], v228 offset0:168 offset1:220
	s_waitcnt lgkmcnt(0)
	v_mul_f32_e32 v56, v53, v62
	v_mul_f32_e32 v240, v52, v62
	;; [unrolled: 1-line block ×3, first 2 shown]
	v_fma_f32 v239, v52, v61, -v56
	v_mul_f32_e32 v52, v55, v206
	v_fmac_f32_e32 v240, v53, v61
	v_fmac_f32_e32 v62, v55, v205
	v_fma_f32 v61, v54, v205, -v52
	ds_read2_b64 v[52:55], v230 offset0:160 offset1:212
	s_waitcnt vmcnt(1) lgkmcnt(0)
	v_mul_f32_e32 v56, v53, v242
	v_mul_f32_e32 v206, v52, v242
	s_waitcnt vmcnt(0)
	v_mul_f32_e32 v242, v54, v85
	v_fma_f32 v205, v52, v241, -v56
	v_mul_f32_e32 v52, v55, v85
	v_fmac_f32_e32 v206, v53, v241
	v_fmac_f32_e32 v242, v55, v84
	v_fma_f32 v241, v54, v84, -v52
	v_add_co_u32 v52, s0, 0x2000, v63
	v_add_co_ci_u32_e64 v53, s0, 0, v95, s0
	s_clause 0x3
	global_load_dwordx2 v[84:85], v[52:53], off offset:128
	global_load_dwordx2 v[245:246], v[52:53], off offset:544
	;; [unrolled: 1-line block ×4, first 2 shown]
	ds_read2_b64 v[52:55], v25 offset0:16 offset1:68
	s_waitcnt vmcnt(3) lgkmcnt(0)
	v_mul_f32_e32 v56, v53, v85
	v_mul_f32_e32 v252, v52, v85
	s_waitcnt vmcnt(2)
	v_mul_f32_e32 v85, v54, v246
	v_fma_f32 v251, v52, v84, -v56
	v_mul_f32_e32 v52, v55, v246
	v_fmac_f32_e32 v252, v53, v84
	v_fmac_f32_e32 v85, v55, v245
	v_fma_f32 v84, v54, v245, -v52
	ds_read2_b64 v[52:55], v227 offset0:8 offset1:60
	s_waitcnt lgkmcnt(0)
	v_mul_f32_e32 v56, v53, v60
	v_mul_f32_e32 v246, v52, v60
	;; [unrolled: 1-line block ×3, first 2 shown]
	v_fma_f32 v245, v52, v59, -v56
	v_mul_f32_e32 v52, v55, v58
	v_fmac_f32_e32 v246, v53, v59
	v_fmac_f32_e32 v60, v55, v57
	v_fma_f32 v59, v54, v57, -v52
	ds_read2_b64 v[52:55], v25 offset0:120 offset1:172
	s_waitcnt vmcnt(1) lgkmcnt(0)
	v_mul_f32_e32 v56, v53, v248
	v_mul_f32_e32 v57, v52, v248
	v_fma_f32 v56, v52, v247, -v56
	v_fmac_f32_e32 v57, v53, v247
	s_waitcnt vmcnt(0)
	v_mul_f32_e32 v52, v55, v250
	v_mul_f32_e32 v53, v54, v250
	v_fma_f32 v52, v54, v249, -v52
	v_fmac_f32_e32 v53, v55, v249
	ds_write2_b64 v208, v[66:67], v[72:73] offset0:52 offset1:104
	ds_write2_b64 v227, v[70:71], v[88:89] offset0:164 offset1:216
	;; [unrolled: 1-line block ×11, first 2 shown]
	ds_write_b64 v208, v[52:53] offset:9568
	s_waitcnt lgkmcnt(0)
	s_barrier
	buffer_gl0_inv
	ds_read2_b64 v[52:55], v208 offset1:52
	ds_read2_b64 v[56:59], v227 offset0:112 offset1:164
	ds_read2_b64 v[66:69], v208 offset0:104 offset1:156
	;; [unrolled: 1-line block ×11, first 2 shown]
	s_waitcnt lgkmcnt(0)
	s_barrier
	buffer_gl0_inv
	v_sub_f32_e32 v62, v52, v56
	v_sub_f32_e32 v63, v53, v57
	;; [unrolled: 1-line block ×4, first 2 shown]
	v_fma_f32 v60, v52, 2.0, -v62
	v_fma_f32 v61, v53, 2.0, -v63
	v_lshlrev_b32_e32 v52, 4, v209
	v_fma_f32 v54, v54, 2.0, -v56
	v_fma_f32 v55, v55, 2.0, -v57
	ds_write_b128 v52, v[60:63]
	ds_write_b128 v77, v[54:57]
	buffer_load_dword v56, off, s[20:23], 0 offset:16 ; 4-byte Folded Reload
	v_sub_f32_e32 v54, v66, v233
	v_sub_f32_e32 v55, v67, v234
	v_fma_f32 v52, v66, 2.0, -v54
	v_fma_f32 v53, v67, 2.0, -v55
	s_waitcnt vmcnt(0)
	ds_write_b128 v56, v[52:55]
	buffer_load_dword v56, off, s[20:23], 0 offset:12 ; 4-byte Folded Reload
	v_sub_f32_e32 v54, v68, v235
	v_sub_f32_e32 v55, v69, v236
	v_fma_f32 v52, v68, 2.0, -v54
	v_fma_f32 v53, v69, 2.0, -v55
	s_waitcnt vmcnt(0)
	;; [unrolled: 7-line block ×4, first 2 shown]
	ds_write_b128 v56, v[52:55]
	buffer_load_dword v56, off, s[20:23], 0 ; 4-byte Folded Reload
	v_sub_f32_e32 v54, v245, v249
	v_sub_f32_e32 v55, v246, v250
	v_fma_f32 v52, v245, 2.0, -v54
	v_fma_f32 v53, v246, 2.0, -v55
	s_waitcnt vmcnt(0)
	ds_write_b128 v56, v[52:55]
	buffer_load_dword v56, off, s[20:23], 0 offset:32 ; 4-byte Folded Reload
	v_sub_f32_e32 v54, v247, v251
	v_sub_f32_e32 v55, v248, v252
	v_fma_f32 v52, v247, 2.0, -v54
	v_fma_f32 v53, v248, 2.0, -v55
	ds_write_b128 v253, v[52:55]
	v_sub_f32_e32 v54, v70, v78
	v_sub_f32_e32 v55, v71, v79
	v_fma_f32 v52, v70, 2.0, -v54
	v_fma_f32 v53, v71, 2.0, -v55
	s_waitcnt vmcnt(0)
	ds_write_b128 v56, v[52:55]
	buffer_load_dword v56, off, s[20:23], 0 offset:28 ; 4-byte Folded Reload
	v_sub_f32_e32 v54, v72, v80
	v_sub_f32_e32 v55, v73, v81
	v_fma_f32 v52, v72, 2.0, -v54
	v_fma_f32 v53, v73, 2.0, -v55
	s_waitcnt vmcnt(0)
	ds_write_b128 v56, v[52:55]
	buffer_load_dword v56, off, s[20:23], 0 offset:24 ; 4-byte Folded Reload
	;; [unrolled: 7-line block ×3, first 2 shown]
	v_sub_f32_e32 v54, v84, v88
	v_sub_f32_e32 v55, v85, v89
	v_fma_f32 v52, v84, 2.0, -v54
	v_fma_f32 v53, v85, 2.0, -v55
	s_waitcnt vmcnt(0)
	ds_write_b128 v56, v[52:55]
	s_waitcnt lgkmcnt(0)
	s_barrier
	buffer_gl0_inv
	ds_read2_b64 v[52:55], v227 offset0:112 offset1:164
	s_waitcnt lgkmcnt(0)
	v_mul_f32_e32 v56, v65, v53
	v_mul_f32_e32 v68, v65, v55
	v_fmac_f32_e32 v56, v64, v52
	v_mul_f32_e32 v52, v65, v52
	v_fmac_f32_e32 v68, v64, v54
	v_fma_f32 v57, v64, v53, -v52
	v_mul_f32_e32 v52, v65, v54
	v_fma_f32 v69, v64, v55, -v52
	ds_read2_b64 v[52:55], v24 offset0:88 offset1:140
	s_waitcnt lgkmcnt(0)
	v_mul_f32_e32 v24, v65, v52
	v_mul_f32_e32 v81, v65, v53
	v_mul_f32_e32 v83, v65, v55
	v_fma_f32 v82, v64, v53, -v24
	v_mul_f32_e32 v24, v65, v54
	v_fmac_f32_e32 v81, v64, v52
	v_fmac_f32_e32 v83, v64, v54
	v_fma_f32 v84, v64, v55, -v24
	ds_read2_b64 v[52:55], v228 offset0:64 offset1:116
	s_waitcnt lgkmcnt(0)
	v_mul_f32_e32 v24, v65, v52
	v_mul_f32_e32 v85, v65, v53
	v_mul_f32_e32 v87, v65, v55
	v_fma_f32 v86, v64, v53, -v24
	v_mul_f32_e32 v24, v65, v54
	v_fmac_f32_e32 v85, v64, v52
	v_fmac_f32_e32 v87, v64, v54
	;; [unrolled: 10-line block ×5, first 2 shown]
	v_fma_f32 v240, v64, v55, -v24
	ds_read2_b64 v[52:55], v208 offset1:52
	s_waitcnt lgkmcnt(0)
	v_sub_f32_e32 v24, v52, v56
	v_sub_f32_e32 v25, v53, v57
	ds_read2_b64 v[56:59], v208 offset0:104 offset1:156
	ds_read2_b64 v[60:63], v229 offset0:80 offset1:132
	;; [unrolled: 1-line block ×5, first 2 shown]
	s_waitcnt lgkmcnt(0)
	s_barrier
	v_fma_f32 v52, v52, 2.0, -v24
	v_fma_f32 v53, v53, 2.0, -v25
	buffer_gl0_inv
	ds_write2_b64 v93, v[52:53], v[24:25] offset1:2
	v_sub_f32_e32 v24, v54, v68
	v_sub_f32_e32 v25, v55, v69
	v_fma_f32 v52, v54, 2.0, -v24
	v_fma_f32 v53, v55, 2.0, -v25
	v_sub_f32_e32 v68, v66, v205
	v_sub_f32_e32 v69, v67, v206
	ds_write2_b64 v94, v[52:53], v[24:25] offset1:2
	v_sub_f32_e32 v24, v56, v81
	v_sub_f32_e32 v25, v57, v82
	v_fma_f32 v54, v66, 2.0, -v68
	v_fma_f32 v55, v67, 2.0, -v69
	;; [unrolled: 1-line block ×4, first 2 shown]
	v_sub_f32_e32 v56, v72, v235
	v_sub_f32_e32 v57, v73, v236
	ds_write2_b64 v92, v[52:53], v[24:25] offset1:2
	v_sub_f32_e32 v24, v58, v83
	v_sub_f32_e32 v25, v59, v84
	v_fma_f32 v52, v58, 2.0, -v24
	v_fma_f32 v53, v59, 2.0, -v25
	ds_write2_b64 v91, v[52:53], v[24:25] offset1:2
	v_sub_f32_e32 v24, v60, v85
	v_sub_f32_e32 v25, v61, v86
	v_fma_f32 v52, v60, 2.0, -v24
	v_fma_f32 v53, v61, 2.0, -v25
	v_sub_f32_e32 v60, v70, v233
	v_sub_f32_e32 v61, v71, v234
	ds_write2_b64 v90, v[52:53], v[24:25] offset1:2
	v_sub_f32_e32 v24, v62, v87
	v_sub_f32_e32 v25, v63, v88
	v_fma_f32 v70, v70, 2.0, -v60
	v_fma_f32 v71, v71, 2.0, -v61
	;; [unrolled: 1-line block ×6, first 2 shown]
	ds_write2_b64 v76, v[52:53], v[24:25] offset1:2
	v_sub_f32_e32 v52, v64, v89
	v_sub_f32_e32 v53, v65, v95
	;; [unrolled: 1-line block ×4, first 2 shown]
	v_fma_f32 v81, v64, 2.0, -v52
	v_fma_f32 v82, v65, 2.0, -v53
	ds_write2_b64 v75, v[81:82], v[52:53] offset1:2
	ds_write2_b64 v74, v[54:55], v[68:69] offset1:2
	;; [unrolled: 1-line block ×4, first 2 shown]
	buffer_load_dword v72, off, s[20:23], 0 offset:40 ; 4-byte Folded Reload
	v_sub_f32_e32 v64, v77, v237
	v_sub_f32_e32 v65, v78, v238
	v_fma_f32 v66, v79, 2.0, -v24
	v_fma_f32 v67, v80, 2.0, -v25
	;; [unrolled: 1-line block ×4, first 2 shown]
	s_waitcnt vmcnt(0)
	ds_write2_b64 v72, v[58:59], v[64:65] offset1:2
	buffer_load_dword v72, off, s[20:23], 0 offset:36 ; 4-byte Folded Reload
	s_waitcnt vmcnt(0)
	ds_write2_b64 v72, v[66:67], v[24:25] offset1:2
	s_waitcnt lgkmcnt(0)
	s_barrier
	buffer_gl0_inv
	ds_read_b64 v[205:206], v208 offset:9216
	ds_read2_b64 v[88:91], v230 offset0:128 offset1:224
	ds_read2_b64 v[72:75], v208 offset1:96
	ds_read2_b64 v[92:95], v229 offset0:64 offset1:160
	ds_read2_b64 v[84:87], v227 offset0:64 offset1:160
	ds_read2_b64 v[80:83], v228 offset1:96
	ds_read2_b64 v[76:79], v232 offset0:64 offset1:160
	s_and_saveexec_b32 s0, vcc_lo
	s_cbranch_execz .LBB0_7
; %bb.6:
	ds_read2_b64 v[52:55], v208 offset0:52 offset1:148
	ds_read2_b64 v[68:71], v229 offset0:116 offset1:212
	;; [unrolled: 1-line block ×6, first 2 shown]
	ds_read_b64 v[147:148], v208 offset:9632
.LBB0_7:
	s_or_b32 exec_lo, exec_lo, s0
	s_waitcnt lgkmcnt(4)
	v_mul_f32_e32 v227, v13, v75
	v_mul_f32_e32 v228, v13, v74
	s_waitcnt lgkmcnt(3)
	v_mul_f32_e32 v229, v15, v93
	v_mul_f32_e32 v230, v15, v92
	;; [unrolled: 1-line block ×3, first 2 shown]
	v_fmac_f32_e32 v227, v12, v74
	v_fma_f32 v74, v12, v75, -v228
	v_mul_f32_e32 v75, v9, v94
	v_fmac_f32_e32 v229, v14, v92
	v_mul_f32_e32 v228, v11, v88
	v_mul_f32_e32 v92, v1, v91
	v_fma_f32 v93, v14, v93, -v230
	v_fma_f32 v95, v8, v95, -v75
	v_mul_f32_e32 v75, v1, v90
	v_fmac_f32_e32 v231, v8, v94
	v_mul_f32_e32 v94, v11, v89
	v_fma_f32 v228, v10, v89, -v228
	v_fmac_f32_e32 v92, v0, v90
	v_fma_f32 v89, v0, v91, -v75
	s_waitcnt lgkmcnt(2)
	v_mul_f32_e32 v75, v3, v84
	v_add_f32_e32 v90, v72, v227
	v_add_f32_e32 v91, v73, v74
	v_fmac_f32_e32 v94, v10, v88
	v_mul_f32_e32 v88, v3, v85
	v_fma_f32 v85, v2, v85, -v75
	v_add_f32_e32 v75, v90, v229
	v_add_f32_e32 v90, v91, v93
	v_mul_f32_e32 v91, v5, v86
	v_fmac_f32_e32 v88, v2, v84
	v_mul_f32_e32 v84, v5, v87
	s_waitcnt lgkmcnt(1)
	v_mul_f32_e32 v230, v7, v81
	v_add_f32_e32 v75, v75, v231
	v_add_f32_e32 v90, v90, v95
	s_waitcnt lgkmcnt(0)
	v_fmac_f32_e32 v84, v4, v86
	v_fma_f32 v86, v4, v87, -v91
	v_mul_f32_e32 v87, v7, v80
	v_fmac_f32_e32 v230, v6, v80
	v_add_f32_e32 v75, v75, v94
	v_add_f32_e32 v80, v90, v228
	v_mul_f32_e32 v90, v17, v83
	v_fma_f32 v81, v6, v81, -v87
	v_mul_f32_e32 v87, v17, v82
	v_add_f32_e32 v75, v75, v92
	v_add_f32_e32 v80, v80, v89
	v_fmac_f32_e32 v90, v16, v82
	v_mul_f32_e32 v82, v19, v77
	v_fma_f32 v83, v16, v83, -v87
	v_add_f32_e32 v75, v75, v88
	v_add_f32_e32 v80, v80, v85
	v_mul_f32_e32 v87, v19, v76
	v_fmac_f32_e32 v82, v18, v76
	v_mul_f32_e32 v76, v21, v79
	v_add_f32_e32 v75, v75, v84
	v_add_f32_e32 v80, v80, v86
	v_fma_f32 v77, v18, v77, -v87
	v_mul_f32_e32 v87, v23, v205
	v_mul_f32_e32 v91, v23, v206
	v_add_f32_e32 v75, v75, v230
	v_add_f32_e32 v80, v80, v81
	v_fmac_f32_e32 v76, v20, v78
	v_fma_f32 v87, v22, v206, -v87
	v_mul_f32_e32 v78, v21, v78
	v_add_f32_e32 v75, v75, v90
	v_add_f32_e32 v80, v80, v83
	v_fmac_f32_e32 v91, v22, v205
	v_sub_f32_e32 v205, v74, v87
	v_fma_f32 v78, v20, v79, -v78
	v_add_f32_e32 v75, v75, v82
	v_add_f32_e32 v79, v80, v77
	;; [unrolled: 1-line block ×3, first 2 shown]
	v_mul_f32_e32 v206, 0xbeedf032, v205
	v_add_f32_e32 v232, v74, v87
	v_add_f32_e32 v74, v75, v76
	;; [unrolled: 1-line block ×3, first 2 shown]
	v_sub_f32_e32 v79, v227, v91
	v_fmamk_f32 v227, v80, 0x3f62ad3f, v206
	v_sub_f32_e32 v250, v93, v78
	v_mul_f32_e32 v233, 0x3f62ad3f, v232
	v_add_f32_e32 v75, v75, v87
	v_mul_f32_e32 v234, 0x3f116cb1, v232
	v_add_f32_e32 v87, v72, v227
	v_mul_f32_e32 v227, 0xbf52af12, v205
	v_mul_f32_e32 v237, 0xbf7e222b, v205
	;; [unrolled: 1-line block ×9, first 2 shown]
	v_add_f32_e32 v252, v229, v76
	v_mul_f32_e32 v253, 0xbf52af12, v250
	v_add_f32_e32 v78, v93, v78
	v_add_f32_e32 v74, v74, v91
	v_fmamk_f32 v91, v79, 0x3eedf032, v233
	v_fma_f32 v206, 0x3f62ad3f, v80, -v206
	v_fmac_f32_e32 v233, 0xbeedf032, v79
	v_fmamk_f32 v235, v80, 0x3f116cb1, v227
	v_fmamk_f32 v236, v79, 0x3f52af12, v234
	v_fma_f32 v227, 0x3f116cb1, v80, -v227
	v_fmac_f32_e32 v234, 0xbf52af12, v79
	v_fmamk_f32 v238, v80, 0x3df6dbef, v237
	;; [unrolled: 4-line block ×5, first 2 shown]
	v_fmamk_f32 v251, v79, 0x3e750f2a, v232
	v_fma_f32 v80, 0xbf788fa5, v80, -v205
	v_fmac_f32_e32 v232, 0xbe750f2a, v79
	v_sub_f32_e32 v76, v229, v76
	v_fmamk_f32 v79, v252, 0x3f116cb1, v253
	v_mul_f32_e32 v93, 0x3f116cb1, v78
	v_add_f32_e32 v91, v73, v91
	v_add_f32_e32 v206, v72, v206
	;; [unrolled: 1-line block ×24, first 2 shown]
	v_fmamk_f32 v80, v76, 0x3f52af12, v93
	v_mul_f32_e32 v87, 0xbf6f5d39, v250
	v_fma_f32 v229, 0x3f116cb1, v252, -v253
	v_fmac_f32_e32 v93, 0xbf52af12, v76
	v_mul_f32_e32 v232, 0xbeb58ec6, v78
	v_add_f32_e32 v80, v80, v91
	v_fmamk_f32 v91, v252, 0xbeb58ec6, v87
	v_add_f32_e32 v206, v229, v206
	v_add_f32_e32 v93, v93, v233
	v_fmamk_f32 v229, v76, 0x3f6f5d39, v232
	v_mul_f32_e32 v233, 0xbe750f2a, v250
	v_fma_f32 v87, 0xbeb58ec6, v252, -v87
	v_fmac_f32_e32 v232, 0xbf6f5d39, v76
	v_add_f32_e32 v91, v91, v235
	v_add_f32_e32 v229, v229, v236
	v_fmamk_f32 v235, v252, 0xbf788fa5, v233
	v_mul_f32_e32 v236, 0xbf788fa5, v78
	v_add_f32_e32 v87, v87, v227
	v_add_f32_e32 v227, v232, v234
	v_mul_f32_e32 v232, 0x3f29c268, v250
	v_add_f32_e32 v234, v235, v238
	v_fmamk_f32 v235, v76, 0x3e750f2a, v236
	v_fma_f32 v233, 0xbf788fa5, v252, -v233
	v_fmac_f32_e32 v236, 0xbe750f2a, v76
	v_fmamk_f32 v238, v252, 0xbf3f9e67, v232
	v_mul_f32_e32 v251, 0xbf3f9e67, v78
	v_add_f32_e32 v235, v235, v241
	v_add_f32_e32 v233, v233, v237
	;; [unrolled: 1-line block ×4, first 2 shown]
	v_fmamk_f32 v238, v76, 0xbf29c268, v251
	v_mul_f32_e32 v239, 0x3f7e222b, v250
	v_fma_f32 v232, 0xbf3f9e67, v252, -v232
	v_mul_f32_e32 v241, 0x3df6dbef, v78
	v_mul_f32_e32 v78, 0x3f62ad3f, v78
	v_add_f32_e32 v238, v238, v244
	v_fmamk_f32 v242, v252, 0x3df6dbef, v239
	v_mul_f32_e32 v244, 0x3eedf032, v250
	v_fma_f32 v239, 0x3df6dbef, v252, -v239
	v_add_f32_e32 v232, v232, v240
	v_fmamk_f32 v240, v76, 0xbf7e222b, v241
	v_add_f32_e32 v242, v242, v247
	v_fmac_f32_e32 v241, 0x3f7e222b, v76
	v_fmamk_f32 v247, v252, 0x3f62ad3f, v244
	v_add_f32_e32 v239, v239, v245
	v_sub_f32_e32 v245, v95, v77
	v_add_f32_e32 v240, v240, v248
	v_add_f32_e32 v241, v241, v246
	;; [unrolled: 1-line block ×4, first 2 shown]
	v_mul_f32_e32 v249, 0xbf7e222b, v245
	v_add_f32_e32 v77, v95, v77
	v_fmac_f32_e32 v251, 0x3f29c268, v76
	v_fmamk_f32 v247, v76, 0xbeedf032, v78
	v_fma_f32 v95, 0x3f62ad3f, v252, -v244
	v_fmac_f32_e32 v78, 0x3eedf032, v76
	v_sub_f32_e32 v76, v231, v82
	v_fmamk_f32 v82, v248, 0x3df6dbef, v249
	v_mul_f32_e32 v231, 0x3df6dbef, v77
	v_add_f32_e32 v72, v95, v72
	v_add_f32_e32 v73, v78, v73
	v_fma_f32 v95, 0x3df6dbef, v248, -v249
	v_add_f32_e32 v78, v82, v79
	v_fmamk_f32 v79, v76, 0x3f7e222b, v231
	v_mul_f32_e32 v82, 0xbe750f2a, v245
	v_fmac_f32_e32 v231, 0xbf7e222b, v76
	v_mul_f32_e32 v244, 0xbf788fa5, v77
	v_add_f32_e32 v95, v95, v206
	v_add_f32_e32 v79, v79, v80
	v_fmamk_f32 v80, v248, 0xbf788fa5, v82
	v_add_f32_e32 v93, v231, v93
	v_fmamk_f32 v206, v76, 0x3e750f2a, v244
	v_mul_f32_e32 v231, 0x3f6f5d39, v245
	v_add_f32_e32 v205, v247, v205
	v_add_f32_e32 v80, v80, v91
	v_fma_f32 v82, 0xbf788fa5, v248, -v82
	v_add_f32_e32 v91, v206, v229
	v_fmamk_f32 v206, v248, 0xbeb58ec6, v231
	v_mul_f32_e32 v229, 0xbeb58ec6, v77
	v_fmac_f32_e32 v244, 0xbe750f2a, v76
	v_mul_f32_e32 v247, 0x3f62ad3f, v77
	v_add_f32_e32 v82, v82, v87
	v_add_f32_e32 v206, v206, v234
	v_fmamk_f32 v234, v76, 0xbf6f5d39, v229
	v_fmac_f32_e32 v229, 0x3f6f5d39, v76
	v_add_f32_e32 v87, v244, v227
	v_mul_f32_e32 v227, 0x3eedf032, v245
	v_fma_f32 v231, 0xbeb58ec6, v248, -v231
	v_add_f32_e32 v234, v234, v235
	v_add_f32_e32 v229, v229, v236
	v_fmamk_f32 v235, v76, 0xbeedf032, v247
	v_mul_f32_e32 v236, 0xbf52af12, v245
	v_fmamk_f32 v244, v248, 0x3f62ad3f, v227
	v_add_f32_e32 v231, v231, v233
	v_fma_f32 v227, 0x3f62ad3f, v248, -v227
	v_add_f32_e32 v235, v235, v238
	v_fmamk_f32 v238, v248, 0x3f116cb1, v236
	v_fma_f32 v236, 0x3f116cb1, v248, -v236
	v_add_f32_e32 v233, v244, v237
	v_mul_f32_e32 v237, 0x3f116cb1, v77
	v_add_f32_e32 v227, v227, v232
	v_mul_f32_e32 v244, 0xbf29c268, v245
	v_add_f32_e32 v236, v236, v239
	v_sub_f32_e32 v239, v228, v83
	v_fmamk_f32 v232, v76, 0x3f52af12, v237
	v_add_f32_e32 v238, v238, v242
	v_fmac_f32_e32 v237, 0xbf52af12, v76
	v_mul_f32_e32 v77, 0xbf3f9e67, v77
	v_add_f32_e32 v242, v94, v90
	v_mul_f32_e32 v245, 0xbf6f5d39, v239
	v_add_f32_e32 v83, v228, v83
	v_fmac_f32_e32 v247, 0x3eedf032, v76
	v_add_f32_e32 v237, v237, v241
	v_fmamk_f32 v241, v76, 0x3f29c268, v77
	v_fmac_f32_e32 v77, 0xbf29c268, v76
	v_sub_f32_e32 v76, v94, v90
	v_fmamk_f32 v90, v242, 0xbeb58ec6, v245
	v_mul_f32_e32 v94, 0xbeb58ec6, v83
	v_fma_f32 v228, 0xbf3f9e67, v248, -v244
	v_add_f32_e32 v73, v77, v73
	v_add_f32_e32 v205, v241, v205
	;; [unrolled: 1-line block ×3, first 2 shown]
	v_fmamk_f32 v78, v76, 0x3f6f5d39, v94
	v_mul_f32_e32 v90, 0x3f29c268, v239
	v_add_f32_e32 v72, v228, v72
	v_fma_f32 v228, 0xbeb58ec6, v242, -v245
	v_fmac_f32_e32 v94, 0xbf6f5d39, v76
	v_mul_f32_e32 v241, 0xbf3f9e67, v83
	v_add_f32_e32 v78, v78, v79
	v_fmamk_f32 v79, v242, 0xbf3f9e67, v90
	v_add_f32_e32 v95, v228, v95
	v_add_f32_e32 v93, v94, v93
	v_fmamk_f32 v94, v76, 0xbf29c268, v241
	v_mul_f32_e32 v228, 0x3eedf032, v239
	v_add_f32_e32 v79, v79, v80
	v_fma_f32 v80, 0xbf3f9e67, v242, -v90
	v_fmac_f32_e32 v241, 0x3f29c268, v76
	v_add_f32_e32 v90, v94, v91
	v_fmamk_f32 v91, v242, 0x3f62ad3f, v228
	v_mul_f32_e32 v94, 0x3f62ad3f, v83
	v_add_f32_e32 v80, v80, v82
	v_add_f32_e32 v82, v241, v87
	v_mul_f32_e32 v87, 0xbf7e222b, v239
	v_add_f32_e32 v232, v232, v240
	v_fmamk_f32 v240, v248, 0xbf3f9e67, v244
	v_add_f32_e32 v91, v91, v206
	v_fmamk_f32 v206, v76, 0xbeedf032, v94
	v_fma_f32 v228, 0x3f62ad3f, v242, -v228
	v_fmac_f32_e32 v94, 0x3eedf032, v76
	v_fmamk_f32 v241, v242, 0x3df6dbef, v87
	v_mul_f32_e32 v244, 0x3df6dbef, v83
	v_add_f32_e32 v206, v206, v234
	v_add_f32_e32 v228, v228, v231
	;; [unrolled: 1-line block ×4, first 2 shown]
	v_fmamk_f32 v231, v76, 0x3f7e222b, v244
	v_mul_f32_e32 v233, 0x3e750f2a, v239
	v_fma_f32 v87, 0x3df6dbef, v242, -v87
	v_mul_f32_e32 v234, 0xbf788fa5, v83
	v_mul_f32_e32 v239, 0x3f52af12, v239
	v_add_f32_e32 v231, v231, v235
	v_fmamk_f32 v235, v242, 0xbf788fa5, v233
	v_add_f32_e32 v87, v87, v227
	v_fmamk_f32 v227, v76, 0xbe750f2a, v234
	v_fma_f32 v233, 0xbf788fa5, v242, -v233
	v_add_f32_e32 v240, v240, v246
	v_fmac_f32_e32 v234, 0x3e750f2a, v76
	v_mul_f32_e32 v83, 0x3f116cb1, v83
	v_add_f32_e32 v227, v227, v232
	v_fmamk_f32 v232, v242, 0x3f116cb1, v239
	v_add_f32_e32 v233, v233, v236
	v_sub_f32_e32 v236, v89, v81
	v_add_f32_e32 v81, v89, v81
	v_fmac_f32_e32 v244, 0xbf7e222b, v76
	v_add_f32_e32 v235, v235, v238
	v_add_f32_e32 v234, v234, v237
	;; [unrolled: 1-line block ×3, first 2 shown]
	v_fmamk_f32 v237, v76, 0xbf52af12, v83
	v_add_f32_e32 v238, v92, v230
	v_mul_f32_e32 v240, 0xbf29c268, v236
	v_fma_f32 v89, 0x3f116cb1, v242, -v239
	v_fmac_f32_e32 v83, 0x3f52af12, v76
	v_sub_f32_e32 v76, v92, v230
	v_mul_f32_e32 v230, 0xbf3f9e67, v81
	v_fmamk_f32 v92, v238, 0xbf3f9e67, v240
	v_add_f32_e32 v72, v89, v72
	v_add_f32_e32 v73, v83, v73
	v_mul_f32_e32 v89, 0x3f7e222b, v236
	v_fmamk_f32 v83, v76, 0x3f29c268, v230
	v_add_f32_e32 v205, v237, v205
	v_add_f32_e32 v77, v92, v77
	v_fma_f32 v92, 0xbf3f9e67, v238, -v240
	v_fmac_f32_e32 v230, 0xbf29c268, v76
	v_mul_f32_e32 v237, 0x3df6dbef, v81
	v_add_f32_e32 v78, v83, v78
	v_fmamk_f32 v83, v238, 0x3df6dbef, v89
	v_add_f32_e32 v92, v92, v95
	v_add_f32_e32 v93, v230, v93
	v_fmamk_f32 v95, v76, 0xbf7e222b, v237
	v_mul_f32_e32 v230, 0xbf52af12, v236
	v_add_f32_e32 v79, v83, v79
	v_fma_f32 v83, 0x3df6dbef, v238, -v89
	v_fmac_f32_e32 v237, 0x3f7e222b, v76
	v_add_f32_e32 v89, v95, v90
	v_fmamk_f32 v90, v238, 0x3f116cb1, v230
	v_mul_f32_e32 v95, 0x3f116cb1, v81
	v_add_f32_e32 v80, v83, v80
	v_mul_f32_e32 v83, 0x3e750f2a, v236
	v_add_f32_e32 v82, v237, v82
	v_add_f32_e32 v90, v90, v91
	v_fmamk_f32 v91, v76, 0x3f52af12, v95
	v_fma_f32 v230, 0x3f116cb1, v238, -v230
	v_fmac_f32_e32 v95, 0xbf52af12, v76
	v_fmamk_f32 v237, v238, 0xbf788fa5, v83
	v_mul_f32_e32 v239, 0xbf788fa5, v81
	v_add_f32_e32 v91, v91, v206
	v_add_f32_e32 v206, v230, v228
	;; [unrolled: 1-line block ×4, first 2 shown]
	v_fmamk_f32 v228, v76, 0xbe750f2a, v239
	v_mul_f32_e32 v229, 0x3eedf032, v236
	v_fma_f32 v83, 0xbf788fa5, v238, -v83
	v_mul_f32_e32 v230, 0x3f62ad3f, v81
	v_add_f32_e32 v243, v251, v243
	v_add_f32_e32 v228, v228, v231
	v_fmamk_f32 v231, v238, 0x3f62ad3f, v229
	v_add_f32_e32 v237, v83, v87
	v_fmamk_f32 v83, v76, 0xbeedf032, v230
	v_mul_f32_e32 v87, 0xbf6f5d39, v236
	v_fma_f32 v229, 0x3f62ad3f, v238, -v229
	v_add_f32_e32 v243, v247, v243
	v_fmac_f32_e32 v230, 0x3eedf032, v76
	v_add_f32_e32 v227, v83, v227
	v_fmamk_f32 v83, v238, 0xbeb58ec6, v87
	v_mul_f32_e32 v81, 0xbeb58ec6, v81
	v_add_f32_e32 v229, v229, v233
	v_sub_f32_e32 v233, v85, v86
	v_add_f32_e32 v236, v85, v86
	v_add_f32_e32 v241, v244, v243
	v_fmac_f32_e32 v239, 0x3e750f2a, v76
	v_add_f32_e32 v231, v231, v235
	v_add_f32_e32 v230, v230, v234
	;; [unrolled: 1-line block ×3, first 2 shown]
	v_fmamk_f32 v83, v76, 0x3f6f5d39, v81
	v_add_f32_e32 v234, v88, v84
	v_mul_f32_e32 v235, 0xbe750f2a, v233
	v_fma_f32 v85, 0xbeb58ec6, v238, -v87
	v_fmac_f32_e32 v81, 0xbf6f5d39, v76
	v_sub_f32_e32 v238, v88, v84
	v_mul_f32_e32 v84, 0xbf788fa5, v236
	v_add_f32_e32 v239, v239, v241
	v_fmamk_f32 v76, v234, 0xbf788fa5, v235
	v_add_f32_e32 v205, v83, v205
	v_add_f32_e32 v241, v81, v73
	v_fmamk_f32 v73, v238, 0x3e750f2a, v84
	v_mul_f32_e32 v81, 0x3eedf032, v233
	v_fmac_f32_e32 v84, 0xbe750f2a, v238
	v_mul_f32_e32 v83, 0x3f62ad3f, v236
	v_add_f32_e32 v240, v85, v72
	v_add_f32_e32 v72, v76, v77
	;; [unrolled: 1-line block ×3, first 2 shown]
	v_fmamk_f32 v78, v234, 0x3f62ad3f, v81
	v_add_f32_e32 v77, v84, v93
	v_fmamk_f32 v84, v238, 0xbeedf032, v83
	v_mul_f32_e32 v85, 0xbf29c268, v233
	v_fma_f32 v81, 0x3f62ad3f, v234, -v81
	v_fmac_f32_e32 v83, 0x3eedf032, v238
	v_mul_f32_e32 v86, 0xbf3f9e67, v236
	v_mul_f32_e32 v87, 0x3f52af12, v233
	v_add_f32_e32 v78, v78, v79
	v_add_f32_e32 v79, v84, v89
	v_fmamk_f32 v84, v234, 0xbf3f9e67, v85
	v_add_f32_e32 v80, v81, v80
	v_add_f32_e32 v81, v83, v82
	v_fmamk_f32 v83, v238, 0x3f29c268, v86
	v_fmac_f32_e32 v86, 0xbf29c268, v238
	v_fmamk_f32 v88, v234, 0x3f116cb1, v87
	v_mul_f32_e32 v89, 0x3f116cb1, v236
	v_fma_f32 v76, 0xbf788fa5, v234, -v235
	v_add_f32_e32 v82, v84, v90
	v_fma_f32 v84, 0xbf3f9e67, v234, -v85
	v_add_f32_e32 v83, v83, v91
	v_add_f32_e32 v85, v86, v94
	;; [unrolled: 1-line block ×3, first 2 shown]
	v_fmamk_f32 v88, v238, 0xbf52af12, v89
	v_mul_f32_e32 v90, 0xbf6f5d39, v233
	v_fma_f32 v91, 0x3f116cb1, v234, -v87
	v_mul_f32_e32 v93, 0xbeb58ec6, v236
	v_add_f32_e32 v76, v76, v92
	v_add_f32_e32 v84, v84, v206
	;; [unrolled: 1-line block ×3, first 2 shown]
	v_fmamk_f32 v92, v234, 0xbeb58ec6, v90
	v_add_f32_e32 v88, v91, v237
	v_fmamk_f32 v91, v238, 0x3f6f5d39, v93
	v_fma_f32 v94, 0xbeb58ec6, v234, -v90
	v_mul_f32_e32 v95, 0x3f7e222b, v233
	v_mul_f32_e32 v206, 0x3df6dbef, v236
	v_add_f32_e32 v90, v92, v231
	v_add_f32_e32 v91, v91, v227
	;; [unrolled: 1-line block ×3, first 2 shown]
	v_fmamk_f32 v94, v234, 0x3df6dbef, v95
	v_fmamk_f32 v227, v238, 0xbf7e222b, v206
	v_fma_f32 v228, 0x3df6dbef, v234, -v95
	v_fmac_f32_e32 v206, 0x3f7e222b, v238
	v_fmac_f32_e32 v89, 0x3f52af12, v238
	v_fmac_f32_e32 v93, 0xbf6f5d39, v238
	v_add_f32_e32 v94, v94, v232
	v_add_f32_e32 v95, v227, v205
	;; [unrolled: 1-line block ×6, first 2 shown]
	s_barrier
	buffer_gl0_inv
	ds_write2_b64 v212, v[74:75], v[72:73] offset1:4
	ds_write2_b64 v212, v[78:79], v[82:83] offset0:8 offset1:12
	ds_write2_b64 v212, v[86:87], v[90:91] offset0:16 offset1:20
	;; [unrolled: 1-line block ×5, first 2 shown]
	ds_write_b64 v212, v[76:77] offset:384
	s_and_saveexec_b32 s0, vcc_lo
	s_cbranch_execz .LBB0_9
; %bb.8:
	v_mul_f32_e32 v73, v13, v55
	v_mul_f32_e32 v72, v23, v148
	;; [unrolled: 1-line block ×5, first 2 shown]
	v_fmac_f32_e32 v73, v12, v54
	v_fmac_f32_e32 v72, v22, v147
	v_mul_f32_e32 v54, v15, v69
	v_fma_f32 v22, v22, v148, -v74
	v_fma_f32 v55, v12, v55, -v13
	v_mul_f32_e32 v74, v21, v26
	v_sub_f32_e32 v13, v73, v72
	v_fmac_f32_e32 v54, v14, v68
	v_fmac_f32_e32 v23, v20, v26
	v_mul_f32_e32 v15, v15, v68
	v_mul_f32_e32 v26, v9, v71
	;; [unrolled: 1-line block ×3, first 2 shown]
	v_add_f32_e32 v75, v22, v55
	v_mul_f32_e32 v76, 0xbf6f5d39, v13
	v_sub_f32_e32 v12, v54, v23
	v_fma_f32 v20, v20, v27, -v74
	v_fma_f32 v69, v14, v69, -v15
	v_fmac_f32_e32 v26, v8, v70
	v_fmac_f32_e32 v21, v18, v24
	v_mul_f32_e32 v14, v19, v24
	v_mul_f32_e32 v15, v9, v70
	v_fmamk_f32 v77, v75, 0xbeb58ec6, v76
	v_mul_f32_e32 v70, 0x3f29c268, v12
	v_add_f32_e32 v74, v20, v69
	v_sub_f32_e32 v9, v26, v21
	v_fma_f32 v18, v18, v25, -v14
	v_fma_f32 v68, v8, v71, -v15
	v_add_f32_e32 v8, v53, v77
	v_fmamk_f32 v14, v74, 0xbf3f9e67, v70
	v_mul_f32_e32 v71, 0x3eedf032, v9
	v_mul_f32_e32 v27, v11, v61
	v_add_f32_e32 v77, v18, v68
	v_mul_f32_e32 v19, v17, v67
	v_add_f32_e32 v8, v14, v8
	v_mul_f32_e32 v15, v17, v66
	v_fmac_f32_e32 v27, v10, v60
	v_fmamk_f32 v14, v77, 0x3f62ad3f, v71
	v_fmac_f32_e32 v19, v16, v66
	v_mul_f32_e32 v11, v11, v60
	v_mul_f32_e32 v66, v1, v63
	;; [unrolled: 1-line block ×3, first 2 shown]
	v_add_f32_e32 v14, v14, v8
	v_sub_f32_e32 v8, v27, v19
	v_fma_f32 v25, v16, v67, -v15
	v_fma_f32 v67, v10, v61, -v11
	v_fmac_f32_e32 v66, v0, v62
	v_fmac_f32_e32 v24, v6, v64
	v_mul_f32_e32 v10, v7, v64
	v_mul_f32_e32 v1, v1, v62
	;; [unrolled: 1-line block ×3, first 2 shown]
	v_add_f32_e32 v62, v25, v67
	v_sub_f32_e32 v7, v66, v24
	v_fma_f32 v64, v6, v65, -v10
	v_fma_f32 v65, v0, v63, -v1
	v_sub_f32_e32 v81, v55, v22
	v_fmamk_f32 v0, v62, 0x3df6dbef, v60
	v_mul_f32_e32 v61, 0x3e750f2a, v7
	v_add_f32_e32 v10, v72, v73
	v_add_f32_e32 v80, v64, v65
	v_mul_f32_e32 v63, 0xbf6f5d39, v81
	v_add_f32_e32 v0, v0, v14
	v_sub_f32_e32 v82, v69, v20
	v_mul_f32_e32 v78, v3, v57
	v_fmamk_f32 v1, v80, 0xbf788fa5, v61
	v_mul_f32_e32 v79, v5, v59
	v_add_f32_e32 v11, v23, v54
	v_mul_f32_e32 v84, 0x3f29c268, v82
	v_sub_f32_e32 v85, v68, v18
	v_add_f32_e32 v0, v1, v0
	v_fma_f32 v1, 0xbeb58ec6, v10, -v63
	v_fmac_f32_e32 v78, v2, v56
	v_fmac_f32_e32 v79, v4, v58
	v_mul_f32_e32 v5, v5, v58
	v_mul_f32_e32 v3, v3, v56
	v_add_f32_e32 v1, v52, v1
	v_fma_f32 v15, 0xbf3f9e67, v11, -v84
	v_add_f32_e32 v14, v21, v26
	v_mul_f32_e32 v58, 0x3eedf032, v85
	v_sub_f32_e32 v87, v67, v25
	v_sub_f32_e32 v6, v78, v79
	v_fma_f32 v86, v4, v59, -v5
	v_fma_f32 v88, v2, v57, -v3
	v_add_f32_e32 v1, v15, v1
	v_fma_f32 v2, 0x3f62ad3f, v14, -v58
	v_add_f32_e32 v15, v19, v27
	v_mul_f32_e32 v59, 0xbf7e222b, v87
	v_sub_f32_e32 v90, v65, v64
	v_mul_f32_e32 v3, 0xbe750f2a, v13
	v_mul_f32_e32 v83, 0x3f52af12, v6
	v_add_f32_e32 v89, v86, v88
	v_add_f32_e32 v1, v2, v1
	v_fma_f32 v2, 0x3df6dbef, v15, -v59
	v_add_f32_e32 v16, v24, v66
	v_mul_f32_e32 v91, 0x3e750f2a, v90
	v_fmamk_f32 v4, v75, 0xbf788fa5, v3
	v_mul_f32_e32 v5, 0x3eedf032, v12
	v_fmamk_f32 v17, v89, 0x3f116cb1, v83
	v_add_f32_e32 v2, v2, v1
	v_fma_f32 v56, 0xbf788fa5, v16, -v91
	v_add_f32_e32 v4, v53, v4
	v_fmamk_f32 v57, v74, 0x3f62ad3f, v5
	v_mul_f32_e32 v92, 0xbf29c268, v9
	v_sub_f32_e32 v93, v88, v86
	v_add_f32_e32 v1, v17, v0
	v_add_f32_e32 v0, v56, v2
	;; [unrolled: 1-line block ×3, first 2 shown]
	v_fmamk_f32 v4, v77, 0xbf3f9e67, v92
	v_mul_f32_e32 v56, 0x3f52af12, v8
	v_add_f32_e32 v17, v79, v78
	v_mul_f32_e32 v94, 0x3f52af12, v93
	v_mul_f32_e32 v57, 0xbe750f2a, v81
	v_add_f32_e32 v2, v4, v2
	v_fmamk_f32 v4, v62, 0x3f116cb1, v56
	v_mul_f32_e32 v95, 0xbf6f5d39, v7
	v_fma_f32 v147, 0x3f116cb1, v17, -v94
	v_fma_f32 v148, 0xbf788fa5, v10, -v57
	v_mul_f32_e32 v205, 0x3eedf032, v82
	v_add_f32_e32 v2, v4, v2
	v_fmamk_f32 v4, v80, 0xbeb58ec6, v95
	v_add_f32_e32 v0, v147, v0
	v_add_f32_e32 v147, v52, v148
	v_fma_f32 v148, 0x3f62ad3f, v11, -v205
	v_mul_f32_e32 v206, 0xbf29c268, v85
	v_add_f32_e32 v2, v4, v2
	v_mul_f32_e32 v4, 0x3f7e222b, v6
	v_fma_f32 v3, 0xbf788fa5, v75, -v3
	v_add_f32_e32 v147, v148, v147
	v_fma_f32 v148, 0xbf3f9e67, v14, -v206
	v_mul_f32_e32 v212, 0x3f52af12, v87
	v_fmamk_f32 v227, v89, 0x3df6dbef, v4
	v_add_f32_e32 v228, v53, v3
	v_fma_f32 v5, 0x3f62ad3f, v74, -v5
	v_add_f32_e32 v147, v148, v147
	v_fma_f32 v148, 0x3f116cb1, v15, -v212
	v_mul_f32_e32 v229, 0xbf6f5d39, v90
	v_add_f32_e32 v3, v227, v2
	v_add_f32_e32 v2, v5, v228
	v_fma_f32 v5, 0xbf3f9e67, v77, -v92
	v_add_f32_e32 v92, v148, v147
	v_fma_f32 v147, 0xbeb58ec6, v16, -v229
	v_fmac_f32_e32 v57, 0xbf788fa5, v10
	v_mul_f32_e32 v148, 0x3f7e222b, v93
	v_add_f32_e32 v2, v5, v2
	v_fma_f32 v5, 0x3f116cb1, v62, -v56
	v_add_f32_e32 v56, v147, v92
	v_add_f32_e32 v57, v52, v57
	v_fmac_f32_e32 v205, 0x3f62ad3f, v11
	v_fma_f32 v92, 0x3df6dbef, v17, -v148
	v_mul_f32_e32 v147, 0xbf3f9e67, v75
	v_add_f32_e32 v5, v5, v2
	v_fma_f32 v95, 0xbeb58ec6, v80, -v95
	v_add_f32_e32 v57, v205, v57
	v_fmac_f32_e32 v206, 0xbf3f9e67, v14
	v_add_f32_e32 v2, v92, v56
	v_fmamk_f32 v56, v13, 0x3f29c268, v147
	v_mul_f32_e32 v92, 0x3df6dbef, v74
	v_add_f32_e32 v5, v95, v5
	v_add_f32_e32 v57, v206, v57
	v_fmac_f32_e32 v212, 0x3f116cb1, v15
	v_add_f32_e32 v56, v53, v56
	v_fmamk_f32 v95, v12, 0xbf7e222b, v92
	v_mul_f32_e32 v205, 0x3f116cb1, v77
	v_fma_f32 v4, 0x3df6dbef, v89, -v4
	v_add_f32_e32 v57, v212, v57
	v_fmac_f32_e32 v229, 0xbeb58ec6, v16
	v_add_f32_e32 v56, v95, v56
	v_fmamk_f32 v95, v9, 0x3f52af12, v205
	v_mul_f32_e32 v206, 0xbf788fa5, v62
	v_mul_f32_e32 v212, 0xbf29c268, v81
	v_add_f32_e32 v5, v4, v5
	v_add_f32_e32 v4, v229, v57
	;; [unrolled: 1-line block ×3, first 2 shown]
	v_fmamk_f32 v57, v8, 0xbe750f2a, v206
	v_mul_f32_e32 v95, 0x3f62ad3f, v80
	v_fmac_f32_e32 v148, 0x3df6dbef, v17
	v_fmamk_f32 v227, v10, 0xbf3f9e67, v212
	v_mul_f32_e32 v228, 0x3f7e222b, v82
	v_add_f32_e32 v56, v57, v56
	v_fmamk_f32 v57, v7, 0xbeedf032, v95
	v_add_f32_e32 v4, v148, v4
	v_add_f32_e32 v148, v52, v227
	v_fmamk_f32 v227, v11, 0x3df6dbef, v228
	v_mul_f32_e32 v229, 0xbf52af12, v85
	v_add_f32_e32 v56, v57, v56
	v_mul_f32_e32 v230, 0xbeb58ec6, v89
	v_fma_f32 v57, 0xbeb58ec6, v75, -v76
	v_add_f32_e32 v76, v227, v148
	v_fmamk_f32 v148, v14, 0x3f116cb1, v229
	v_mul_f32_e32 v227, 0x3e750f2a, v87
	v_fmamk_f32 v231, v6, 0x3f6f5d39, v230
	v_add_f32_e32 v232, v53, v57
	v_fma_f32 v70, 0xbf3f9e67, v74, -v70
	v_add_f32_e32 v76, v148, v76
	v_fmamk_f32 v148, v15, 0xbf788fa5, v227
	v_mul_f32_e32 v233, 0x3eedf032, v90
	v_add_f32_e32 v57, v231, v56
	v_add_f32_e32 v56, v70, v232
	v_fma_f32 v70, 0x3f62ad3f, v77, -v71
	v_add_f32_e32 v71, v148, v76
	v_fmamk_f32 v76, v16, 0x3f62ad3f, v233
	v_fmac_f32_e32 v63, 0xbeb58ec6, v10
	v_mul_f32_e32 v148, 0xbf6f5d39, v93
	v_add_f32_e32 v56, v70, v56
	v_fma_f32 v60, 0x3df6dbef, v62, -v60
	v_add_f32_e32 v70, v76, v71
	v_add_f32_e32 v63, v52, v63
	v_fmac_f32_e32 v84, 0xbf3f9e67, v11
	v_fmamk_f32 v71, v17, 0xbeb58ec6, v148
	v_mul_f32_e32 v76, 0x3df6dbef, v75
	v_add_f32_e32 v60, v60, v56
	v_fma_f32 v61, 0xbf788fa5, v80, -v61
	v_add_f32_e32 v63, v84, v63
	v_fmac_f32_e32 v58, 0x3f62ad3f, v14
	v_add_f32_e32 v56, v71, v70
	v_fmamk_f32 v70, v13, 0x3f7e222b, v76
	v_mul_f32_e32 v71, 0xbf788fa5, v74
	v_add_f32_e32 v60, v61, v60
	v_add_f32_e32 v58, v58, v63
	v_fmac_f32_e32 v59, 0x3df6dbef, v15
	v_add_f32_e32 v61, v53, v70
	v_fmamk_f32 v63, v12, 0x3e750f2a, v71
	v_mul_f32_e32 v70, 0xbeb58ec6, v77
	v_fma_f32 v83, 0x3f116cb1, v89, -v83
	v_add_f32_e32 v58, v59, v58
	v_fmac_f32_e32 v91, 0xbf788fa5, v16
	v_add_f32_e32 v61, v63, v61
	v_fmamk_f32 v63, v9, 0xbf6f5d39, v70
	v_mul_f32_e32 v84, 0x3f62ad3f, v62
	v_add_f32_e32 v59, v83, v60
	v_mul_f32_e32 v83, 0xbf7e222b, v81
	v_add_f32_e32 v58, v91, v58
	v_add_f32_e32 v60, v63, v61
	v_fmamk_f32 v61, v8, 0xbeedf032, v84
	v_mul_f32_e32 v91, 0x3f116cb1, v80
	v_fmac_f32_e32 v94, 0x3f116cb1, v17
	v_fmamk_f32 v63, v10, 0x3df6dbef, v83
	v_mul_f32_e32 v231, 0xbe750f2a, v82
	v_add_f32_e32 v60, v61, v60
	v_fmamk_f32 v61, v7, 0x3f52af12, v91
	v_add_f32_e32 v58, v94, v58
	v_add_f32_e32 v63, v52, v63
	v_fmamk_f32 v94, v11, 0xbf788fa5, v231
	v_mul_f32_e32 v232, 0x3f6f5d39, v85
	v_add_f32_e32 v60, v61, v60
	v_mul_f32_e32 v235, 0x3f116cb1, v75
	v_mul_f32_e32 v234, 0xbf3f9e67, v89
	v_add_f32_e32 v61, v94, v63
	v_fmamk_f32 v63, v14, 0xbeb58ec6, v232
	v_mul_f32_e32 v94, 0x3eedf032, v87
	v_fmamk_f32 v237, v13, 0x3f52af12, v235
	v_mul_f32_e32 v238, 0xbeb58ec6, v74
	v_mul_f32_e32 v239, 0xbf52af12, v90
	v_add_f32_e32 v61, v63, v61
	v_fmamk_f32 v63, v15, 0x3f62ad3f, v94
	v_fmamk_f32 v236, v6, 0x3f29c268, v234
	v_add_f32_e32 v237, v53, v237
	v_fmamk_f32 v240, v12, 0x3f6f5d39, v238
	v_mul_f32_e32 v241, 0xbf788fa5, v77
	v_add_f32_e32 v63, v63, v61
	v_fmamk_f32 v242, v16, 0x3f116cb1, v239
	v_add_f32_e32 v61, v236, v60
	v_add_f32_e32 v60, v240, v237
	v_fmamk_f32 v236, v9, 0x3e750f2a, v241
	v_mul_f32_e32 v237, 0xbf3f9e67, v62
	v_add_f32_e32 v63, v242, v63
	v_mul_f32_e32 v240, 0xbf29c268, v93
	v_mul_f32_e32 v242, 0xbf52af12, v81
	v_add_f32_e32 v60, v236, v60
	v_fmamk_f32 v236, v8, 0xbf29c268, v237
	v_mul_f32_e32 v246, 0xbf6f5d39, v82
	v_fmamk_f32 v244, v17, 0xbf3f9e67, v240
	v_fmamk_f32 v245, v10, 0x3f116cb1, v242
	v_mul_f32_e32 v243, 0x3df6dbef, v80
	v_add_f32_e32 v236, v236, v60
	v_mul_f32_e32 v75, 0x3f62ad3f, v75
	v_add_f32_e32 v60, v244, v63
	v_add_f32_e32 v63, v52, v245
	v_fmamk_f32 v244, v11, 0xbeb58ec6, v246
	v_mul_f32_e32 v245, 0xbe750f2a, v85
	v_fmamk_f32 v247, v7, 0xbf7e222b, v243
	v_mul_f32_e32 v248, 0x3f29c268, v87
	v_fmamk_f32 v250, v13, 0x3eedf032, v75
	v_add_f32_e32 v63, v244, v63
	v_fmamk_f32 v244, v14, 0xbf788fa5, v245
	v_mul_f32_e32 v74, 0x3f116cb1, v74
	v_add_f32_e32 v55, v55, v53
	v_add_f32_e32 v236, v247, v236
	v_mul_f32_e32 v247, 0x3f62ad3f, v89
	v_add_f32_e32 v63, v244, v63
	v_fmamk_f32 v244, v15, 0xbf3f9e67, v248
	v_mul_f32_e32 v251, 0x3f7e222b, v90
	v_add_f32_e32 v250, v53, v250
	v_fmamk_f32 v252, v12, 0x3f52af12, v74
	v_mul_f32_e32 v77, 0x3df6dbef, v77
	v_add_f32_e32 v55, v69, v55
	v_add_f32_e32 v69, v52, v73
	v_fmamk_f32 v249, v6, 0xbeedf032, v247
	v_add_f32_e32 v63, v244, v63
	v_fmamk_f32 v244, v16, 0x3df6dbef, v251
	v_mul_f32_e32 v253, 0x3eedf032, v93
	v_add_f32_e32 v250, v252, v250
	v_fmamk_f32 v252, v9, 0x3f7e222b, v77
	v_mul_f32_e32 v254, 0xbeb58ec6, v62
	v_add_f32_e32 v55, v68, v55
	v_add_f32_e32 v54, v54, v69
	;; [unrolled: 1-line block ×3, first 2 shown]
	v_fmamk_f32 v244, v17, 0x3f62ad3f, v253
	v_add_f32_e32 v63, v249, v236
	v_add_f32_e32 v236, v252, v250
	v_fmamk_f32 v249, v8, 0x3f6f5d39, v254
	v_mul_f32_e32 v80, 0xbf3f9e67, v80
	v_mul_f32_e32 v81, 0xbeedf032, v81
	v_add_f32_e32 v55, v67, v55
	v_add_f32_e32 v26, v26, v54
	;; [unrolled: 1-line block ×4, first 2 shown]
	v_fmamk_f32 v73, v7, 0x3f29c268, v80
	v_fmamk_f32 v244, v10, 0x3f62ad3f, v81
	v_mul_f32_e32 v82, 0xbf52af12, v82
	v_add_f32_e32 v55, v65, v55
	v_add_f32_e32 v26, v27, v26
	;; [unrolled: 1-line block ×4, first 2 shown]
	v_fmamk_f32 v73, v11, 0x3f116cb1, v82
	v_mul_f32_e32 v54, 0xbf7e222b, v85
	v_mul_f32_e32 v67, 0xbf788fa5, v89
	v_add_f32_e32 v55, v88, v55
	v_add_f32_e32 v66, v66, v26
	;; [unrolled: 1-line block ×3, first 2 shown]
	v_fmamk_f32 v27, v14, 0x3df6dbef, v54
	v_mul_f32_e32 v65, 0xbf6f5d39, v87
	v_fmamk_f32 v73, v6, 0x3e750f2a, v67
	v_add_f32_e32 v55, v86, v55
	v_add_f32_e32 v66, v78, v66
	v_fmac_f32_e32 v147, 0xbf29c268, v13
	v_add_f32_e32 v27, v27, v69
	v_fmamk_f32 v69, v15, 0xbeb58ec6, v65
	v_add_f32_e32 v26, v73, v68
	v_mul_f32_e32 v68, 0xbf29c268, v90
	v_add_f32_e32 v55, v64, v55
	v_add_f32_e32 v64, v79, v66
	;; [unrolled: 1-line block ×3, first 2 shown]
	v_fmac_f32_e32 v92, 0x3f7e222b, v12
	v_add_f32_e32 v27, v69, v27
	v_fmamk_f32 v69, v16, 0xbf3f9e67, v68
	v_mul_f32_e32 v73, 0xbe750f2a, v93
	v_add_f32_e32 v25, v25, v55
	v_add_f32_e32 v24, v24, v64
	;; [unrolled: 1-line block ×3, first 2 shown]
	v_fmac_f32_e32 v205, 0xbf52af12, v9
	v_add_f32_e32 v27, v69, v27
	v_fmamk_f32 v64, v17, 0xbf788fa5, v73
	v_add_f32_e32 v18, v18, v25
	v_add_f32_e32 v19, v19, v24
	v_add_f32_e32 v24, v205, v55
	v_fmac_f32_e32 v206, 0x3e750f2a, v8
	v_add_f32_e32 v25, v64, v27
	v_fma_f32 v27, 0xbf3f9e67, v10, -v212
	v_add_f32_e32 v18, v20, v18
	v_add_f32_e32 v20, v21, v19
	v_add_f32_e32 v21, v206, v24
	v_fmac_f32_e32 v95, 0x3eedf032, v7
	v_add_f32_e32 v24, v52, v27
	v_fma_f32 v27, 0x3df6dbef, v11, -v228
	;; [unrolled: 6-line block ×3, first 2 shown]
	v_fmac_f32_e32 v76, 0xbf7e222b, v13
	v_fmac_f32_e32 v71, 0xbe750f2a, v12
	v_add_f32_e32 v21, v230, v20
	v_fma_f32 v20, 0x3df6dbef, v10, -v83
	v_add_f32_e32 v22, v23, v22
	v_fma_f32 v23, 0xbf788fa5, v15, -v227
	;; [unrolled: 2-line block ×3, first 2 shown]
	v_add_f32_e32 v20, v52, v20
	v_fmac_f32_e32 v70, 0x3f6f5d39, v9
	v_add_f32_e32 v22, v23, v22
	v_fma_f32 v23, 0x3f62ad3f, v16, -v233
	v_add_f32_e32 v24, v71, v24
	v_add_f32_e32 v20, v27, v20
	v_fma_f32 v27, 0xbeb58ec6, v14, -v232
	v_fmac_f32_e32 v84, 0x3eedf032, v8
	v_add_f32_e32 v22, v23, v22
	v_fma_f32 v23, 0xbeb58ec6, v17, -v148
	v_add_f32_e32 v24, v70, v24
	v_add_f32_e32 v27, v27, v20
	v_fma_f32 v55, 0x3f62ad3f, v15, -v94
	v_fmac_f32_e32 v235, 0xbf52af12, v13
	v_add_f32_e32 v20, v23, v22
	v_add_f32_e32 v22, v84, v24
	v_fmac_f32_e32 v91, 0xbf52af12, v7
	v_add_f32_e32 v23, v55, v27
	v_fma_f32 v24, 0x3f116cb1, v16, -v239
	v_add_f32_e32 v27, v53, v235
	v_fmac_f32_e32 v238, 0xbf6f5d39, v12
	v_fma_f32 v55, 0x3f116cb1, v10, -v242
	v_add_f32_e32 v22, v91, v22
	v_fmac_f32_e32 v234, 0xbf29c268, v6
	v_add_f32_e32 v24, v24, v23
	v_add_f32_e32 v27, v238, v27
	v_fmac_f32_e32 v241, 0xbe750f2a, v9
	v_fma_f32 v64, 0xbf3f9e67, v17, -v240
	v_add_f32_e32 v55, v52, v55
	v_fma_f32 v66, 0xbeb58ec6, v11, -v246
	v_add_f32_e32 v23, v234, v22
	v_add_f32_e32 v27, v241, v27
	v_fmac_f32_e32 v237, 0x3f29c268, v8
	v_add_f32_e32 v22, v64, v24
	v_add_f32_e32 v24, v66, v55
	v_fma_f32 v55, 0xbf788fa5, v14, -v245
	v_fmac_f32_e32 v75, 0xbeedf032, v13
	v_fma_f32 v10, 0x3f62ad3f, v10, -v81
	v_add_f32_e32 v13, v237, v27
	v_fmac_f32_e32 v74, 0xbf52af12, v12
	v_add_f32_e32 v24, v55, v24
	v_add_f32_e32 v27, v53, v75
	v_fma_f32 v12, 0xbf3f9e67, v15, -v248
	v_add_f32_e32 v10, v52, v10
	v_fma_f32 v11, 0x3f116cb1, v11, -v82
	v_fmac_f32_e32 v77, 0xbf7e222b, v9
	v_add_f32_e32 v27, v74, v27
	v_add_f32_e32 v9, v12, v24
	v_fma_f32 v12, 0x3df6dbef, v16, -v251
	v_add_f32_e32 v10, v11, v10
	v_fma_f32 v11, 0x3df6dbef, v14, -v54
	v_add_f32_e32 v14, v77, v27
	v_fmac_f32_e32 v254, 0xbf6f5d39, v8
	v_add_f32_e32 v9, v12, v9
	v_mul_u32_u24_e32 v12, 52, v211
	v_add_f32_e32 v8, v11, v10
	v_fma_f32 v10, 0xbeb58ec6, v15, -v65
	v_fmac_f32_e32 v243, 0x3f7e222b, v7
	v_add_f32_e32 v11, v254, v14
	v_fmac_f32_e32 v80, 0xbf29c268, v7
	v_or_b32_e32 v12, v12, v210
	v_add_f32_e32 v7, v10, v8
	v_fma_f32 v8, 0xbf3f9e67, v16, -v68
	v_add_f32_e32 v18, v72, v18
	v_add_f32_e32 v13, v243, v13
	v_fmac_f32_e32 v247, 0x3eedf032, v6
	v_fma_f32 v10, 0x3f62ad3f, v17, -v253
	v_add_f32_e32 v11, v80, v11
	v_fmac_f32_e32 v67, 0xbe750f2a, v6
	v_add_f32_e32 v8, v8, v7
	v_fma_f32 v14, 0xbf788fa5, v17, -v73
	v_lshlrev_b32_e32 v12, 3, v12
	v_add_f32_e32 v7, v247, v13
	v_add_f32_e32 v6, v10, v9
	;; [unrolled: 1-line block ×4, first 2 shown]
	ds_write2_b64 v12, v[18:19], v[25:26] offset1:4
	ds_write2_b64 v12, v[62:63], v[60:61] offset0:8 offset1:12
	ds_write2_b64 v12, v[58:59], v[56:57] offset0:16 offset1:20
	;; [unrolled: 1-line block ×5, first 2 shown]
	ds_write_b64 v12, v[8:9] offset:384
.LBB0_9:
	s_or_b32 exec_lo, exec_lo, s0
	v_add_nc_u32_e32 v0, 0x1000, v208
	v_add_nc_u32_e32 v5, 0x1400, v208
	s_waitcnt lgkmcnt(0)
	s_barrier
	buffer_gl0_inv
	ds_read2_b64 v[6:9], v0 offset0:112 offset1:164
	ds_read2_b64 v[10:13], v5 offset0:88 offset1:140
	ds_read2_b64 v[14:17], v208 offset1:52
	v_add_nc_u32_e32 v4, 0x400, v208
	v_add_nc_u32_e32 v3, 0x1800, v208
	;; [unrolled: 1-line block ×3, first 2 shown]
	ds_read2_b64 v[18:21], v208 offset0:104 offset1:156
	v_add_nc_u32_e32 v1, 0x2000, v208
	ds_read2_b64 v[22:25], v4 offset0:80 offset1:132
	ds_read2_b64 v[52:55], v3 offset0:64 offset1:116
	;; [unrolled: 1-line block ×8, first 2 shown]
	s_waitcnt lgkmcnt(0)
	s_barrier
	buffer_gl0_inv
	s_mov_b32 s0, 0x1a41a41a
	s_mov_b32 s1, 0x3f4a41a4
	s_mul_hi_u32 s4, s8, 0xffffee20
	s_mul_i32 s5, s9, 0xffffee20
	s_sub_i32 s4, s4, s8
	s_add_i32 s4, s4, s5
	s_mul_i32 s5, s8, 0xffffee20
	v_mul_f32_e32 v26, v146, v7
	v_mul_f32_e32 v27, v146, v6
	;; [unrolled: 1-line block ×5, first 2 shown]
	v_fmac_f32_e32 v26, v145, v6
	v_mul_f32_e32 v6, v160, v12
	v_fma_f32 v7, v145, v7, -v27
	v_fma_f32 v9, v145, v9, -v81
	;; [unrolled: 1-line block ×3, first 2 shown]
	v_mul_f32_e32 v81, v168, v53
	v_fma_f32 v83, v159, v13, -v6
	v_mul_f32_e32 v6, v168, v52
	v_fmac_f32_e32 v80, v145, v8
	v_mul_f32_e32 v8, v166, v54
	v_fmac_f32_e32 v81, v167, v52
	v_mul_f32_e32 v85, v166, v55
	v_fma_f32 v52, v167, v53, -v6
	v_mul_f32_e32 v6, v164, v60
	v_mul_f32_e32 v86, v164, v61
	v_fma_f32 v53, v165, v55, -v8
	v_mul_f32_e32 v8, v162, v62
	;; [unrolled: 3-line block ×3, first 2 shown]
	v_fmac_f32_e32 v86, v163, v60
	v_mul_f32_e32 v60, v162, v63
	v_fma_f32 v61, v161, v63, -v8
	v_mul_f32_e32 v84, v160, v13
	v_fma_f32 v63, v157, v69, -v6
	v_mul_f32_e32 v6, v156, v70
	v_mul_f32_e32 v87, v158, v69
	;; [unrolled: 1-line block ×3, first 2 shown]
	v_fmac_f32_e32 v82, v151, v10
	v_mul_f32_e32 v10, v150, v78
	v_fma_f32 v69, v155, v71, -v6
	v_sub_f32_e32 v6, v14, v26
	v_sub_f32_e32 v7, v15, v7
	v_fmac_f32_e32 v84, v159, v12
	v_fmac_f32_e32 v87, v157, v68
	v_mul_f32_e32 v68, v156, v71
	v_fma_f32 v71, v153, v77, -v8
	v_sub_f32_e32 v8, v16, v80
	v_sub_f32_e32 v9, v17, v9
	v_fmac_f32_e32 v85, v165, v54
	v_mul_f32_e32 v88, v154, v77
	v_mul_f32_e32 v89, v150, v79
	v_fmac_f32_e32 v60, v161, v62
	v_fma_f32 v77, v149, v79, -v10
	v_fma_f32 v10, v14, 2.0, -v6
	v_fma_f32 v11, v15, 2.0, -v7
	v_sub_f32_e32 v14, v18, v82
	v_sub_f32_e32 v15, v19, v27
	v_fma_f32 v12, v16, 2.0, -v8
	v_fma_f32 v13, v17, 2.0, -v9
	v_sub_f32_e32 v16, v20, v84
	v_sub_f32_e32 v17, v21, v83
	v_fmac_f32_e32 v68, v155, v70
	v_sub_f32_e32 v26, v22, v81
	v_sub_f32_e32 v27, v23, v52
	v_fmac_f32_e32 v88, v153, v76
	v_sub_f32_e32 v52, v24, v85
	v_sub_f32_e32 v53, v25, v53
	v_fmac_f32_e32 v89, v149, v78
	v_sub_f32_e32 v54, v56, v86
	v_sub_f32_e32 v55, v57, v55
	v_fma_f32 v18, v18, 2.0, -v14
	v_fma_f32 v19, v19, 2.0, -v15
	v_sub_f32_e32 v60, v58, v60
	v_sub_f32_e32 v61, v59, v61
	ds_write2_b64 v208, v[10:11], v[6:7] offset1:52
	ds_write2_b64 v208, v[12:13], v[8:9] offset0:104 offset1:156
	v_add_nc_u32_e32 v6, 0x400, v214
	v_fma_f32 v20, v20, 2.0, -v16
	v_fma_f32 v21, v21, 2.0, -v17
	v_sub_f32_e32 v62, v64, v87
	v_sub_f32_e32 v63, v65, v63
	v_add_nc_u32_e32 v7, 0x800, v218
	v_fma_f32 v22, v22, 2.0, -v26
	v_fma_f32 v23, v23, 2.0, -v27
	v_sub_f32_e32 v68, v66, v68
	v_sub_f32_e32 v69, v67, v69
	v_add_nc_u32_e32 v8, 0x800, v222
	v_fma_f32 v24, v24, 2.0, -v52
	v_fma_f32 v25, v25, 2.0, -v53
	v_sub_f32_e32 v70, v72, v88
	v_sub_f32_e32 v71, v73, v71
	v_add_nc_u32_e32 v9, 0x1000, v221
	v_fma_f32 v56, v56, 2.0, -v54
	v_fma_f32 v57, v57, 2.0, -v55
	v_sub_f32_e32 v76, v74, v89
	v_sub_f32_e32 v77, v75, v77
	v_add_nc_u32_e32 v10, 0x1000, v220
	v_fma_f32 v58, v58, 2.0, -v60
	v_fma_f32 v59, v59, 2.0, -v61
	ds_write2_b64 v6, v[18:19], v[14:15] offset0:80 offset1:132
	ds_write2_b64 v7, v[20:21], v[16:17] offset0:56 offset1:108
	ds_write2_b64 v8, v[22:23], v[26:27] offset0:160 offset1:212
	ds_write2_b64 v9, v[24:25], v[52:53] offset0:8 offset1:60
	ds_write2_b64 v10, v[56:57], v[54:55] offset0:112 offset1:164
	v_add_nc_u32_e32 v6, 0x1400, v219
	v_fma_f32 v64, v64, 2.0, -v62
	v_fma_f32 v65, v65, 2.0, -v63
	v_add_nc_u32_e32 v7, 0x1800, v217
	v_fma_f32 v66, v66, 2.0, -v68
	v_fma_f32 v67, v67, 2.0, -v69
	;; [unrolled: 3-line block ×4, first 2 shown]
	v_add_nc_u32_e32 v10, 0x2000, v213
	ds_write2_b64 v6, v[58:59], v[60:61] offset0:88 offset1:140
	ds_write2_b64 v7, v[64:65], v[62:63] offset0:64 offset1:116
	;; [unrolled: 1-line block ×5, first 2 shown]
	s_waitcnt lgkmcnt(0)
	s_barrier
	buffer_gl0_inv
	ds_read2_b64 v[6:9], v2 offset0:160 offset1:212
	ds_read2_b64 v[10:13], v3 offset0:64 offset1:116
	ds_read2_b64 v[14:17], v208 offset1:52
	ds_read2_b64 v[18:21], v208 offset0:104 offset1:156
	ds_read2_b64 v[22:25], v0 offset0:8 offset1:60
	;; [unrolled: 1-line block ×9, first 2 shown]
	s_waitcnt lgkmcnt(0)
	s_barrier
	buffer_gl0_inv
	v_mul_f32_e32 v26, v29, v7
	v_mul_f32_e32 v27, v29, v6
	;; [unrolled: 1-line block ×5, first 2 shown]
	v_fmac_f32_e32 v26, v28, v6
	v_mul_f32_e32 v6, v31, v10
	v_fma_f32 v7, v28, v7, -v27
	v_mul_f32_e32 v27, v33, v9
	v_fmac_f32_e32 v80, v30, v10
	v_mul_f32_e32 v10, v33, v8
	v_fma_f32 v11, v30, v11, -v6
	v_mul_f32_e32 v6, v35, v12
	v_fmac_f32_e32 v27, v32, v8
	v_mul_f32_e32 v8, v29, v22
	v_mul_f32_e32 v29, v31, v53
	v_fmac_f32_e32 v83, v28, v22
	v_fma_f32 v13, v34, v13, -v6
	v_mul_f32_e32 v6, v31, v52
	v_fma_f32 v23, v28, v23, -v8
	v_mul_f32_e32 v28, v33, v25
	v_mul_f32_e32 v8, v33, v24
	v_fma_f32 v82, v32, v9, -v10
	v_fmac_f32_e32 v29, v30, v52
	v_fma_f32 v30, v30, v53, -v6
	v_mul_f32_e32 v31, v35, v55
	v_fmac_f32_e32 v28, v32, v24
	v_mul_f32_e32 v6, v35, v54
	v_fma_f32 v32, v32, v25, -v8
	v_mul_f32_e32 v33, v49, v61
	v_mul_f32_e32 v8, v49, v60
	v_fmac_f32_e32 v81, v34, v12
	v_fmac_f32_e32 v31, v34, v54
	v_fma_f32 v34, v34, v55, -v6
	v_mul_f32_e32 v35, v51, v65
	v_fmac_f32_e32 v33, v48, v60
	v_mul_f32_e32 v6, v51, v64
	v_fma_f32 v48, v48, v61, -v8
	v_mul_f32_e32 v49, v45, v63
	v_mul_f32_e32 v8, v45, v62
	v_fmac_f32_e32 v35, v50, v64
	v_fma_f32 v45, v50, v65, -v6
	v_mul_f32_e32 v50, v47, v67
	v_fmac_f32_e32 v49, v44, v62
	v_mul_f32_e32 v6, v47, v66
	v_fma_f32 v44, v44, v63, -v8
	v_mul_f32_e32 v8, v41, v72
	v_mul_f32_e32 v47, v41, v73
	v_fmac_f32_e32 v50, v46, v66
	v_fma_f32 v41, v46, v67, -v6
	v_mul_f32_e32 v46, v43, v77
	v_mul_f32_e32 v6, v43, v76
	v_fma_f32 v43, v40, v73, -v8
	v_mul_f32_e32 v8, v37, v74
	v_add_f32_e32 v9, v14, v26
	v_add_f32_e32 v10, v7, v11
	v_fma_f32 v52, v42, v77, -v6
	v_mul_f32_e32 v6, v39, v78
	v_fma_f32 v54, v36, v75, -v8
	v_add_f32_e32 v8, v26, v80
	v_sub_f32_e32 v12, v7, v11
	v_sub_f32_e32 v22, v82, v13
	v_fma_f32 v55, v38, v79, -v6
	v_sub_f32_e32 v24, v27, v81
	v_fma_f32 v6, -0.5, v8, v14
	v_add_f32_e32 v8, v9, v80
	v_add_f32_e32 v9, v15, v7
	v_fma_f32 v7, -0.5, v10, v15
	v_sub_f32_e32 v14, v26, v80
	v_fmamk_f32 v10, v12, 0xbf5db3d7, v6
	v_fmac_f32_e32 v6, 0x3f5db3d7, v12
	v_add_f32_e32 v12, v27, v81
	v_add_f32_e32 v9, v9, v11
	v_fmamk_f32 v11, v14, 0x3f5db3d7, v7
	v_add_f32_e32 v15, v16, v27
	v_fmac_f32_e32 v7, 0xbf5db3d7, v14
	v_add_f32_e32 v14, v82, v13
	v_fma_f32 v16, -0.5, v12, v16
	v_add_f32_e32 v25, v18, v83
	v_add_f32_e32 v12, v15, v81
	;; [unrolled: 1-line block ×3, first 2 shown]
	v_fmac_f32_e32 v17, -0.5, v14
	v_fmamk_f32 v14, v22, 0xbf5db3d7, v16
	v_fmac_f32_e32 v16, 0x3f5db3d7, v22
	v_add_f32_e32 v22, v83, v29
	v_add_f32_e32 v13, v15, v13
	v_fmamk_f32 v15, v24, 0x3f5db3d7, v17
	v_fmac_f32_e32 v17, 0xbf5db3d7, v24
	v_add_f32_e32 v24, v23, v30
	v_fma_f32 v18, -0.5, v22, v18
	v_sub_f32_e32 v26, v23, v30
	v_add_f32_e32 v23, v19, v23
	v_sub_f32_e32 v27, v83, v29
	v_fma_f32 v19, -0.5, v24, v19
	v_add_f32_e32 v22, v25, v29
	v_fmamk_f32 v24, v26, 0xbf5db3d7, v18
	v_fmac_f32_e32 v18, 0x3f5db3d7, v26
	v_add_f32_e32 v26, v28, v31
	v_add_f32_e32 v23, v23, v30
	v_fmamk_f32 v25, v27, 0x3f5db3d7, v19
	v_add_f32_e32 v29, v20, v28
	v_fmac_f32_e32 v19, 0xbf5db3d7, v27
	v_add_f32_e32 v27, v32, v34
	v_fma_f32 v20, -0.5, v26, v20
	v_sub_f32_e32 v30, v32, v34
	v_mul_f32_e32 v51, v37, v75
	v_add_f32_e32 v26, v29, v31
	v_add_f32_e32 v29, v21, v32
	v_fmac_f32_e32 v21, -0.5, v27
	v_sub_f32_e32 v31, v28, v31
	v_fmamk_f32 v28, v30, 0xbf5db3d7, v20
	v_fmac_f32_e32 v20, 0x3f5db3d7, v30
	v_add_f32_e32 v30, v33, v35
	v_mul_f32_e32 v53, v39, v79
	v_fmac_f32_e32 v51, v36, v74
	v_add_f32_e32 v27, v29, v34
	v_fmamk_f32 v29, v31, 0x3f5db3d7, v21
	v_fmac_f32_e32 v21, 0xbf5db3d7, v31
	v_add_f32_e32 v31, v48, v45
	v_fma_f32 v30, -0.5, v30, v56
	v_sub_f32_e32 v36, v48, v45
	v_add_f32_e32 v37, v57, v48
	v_fmac_f32_e32 v53, v38, v78
	v_add_f32_e32 v32, v56, v33
	v_fma_f32 v31, -0.5, v31, v57
	v_sub_f32_e32 v38, v33, v35
	v_fmamk_f32 v34, v36, 0xbf5db3d7, v30
	v_fmac_f32_e32 v30, 0x3f5db3d7, v36
	v_add_f32_e32 v33, v37, v45
	v_add_f32_e32 v36, v49, v50
	;; [unrolled: 1-line block ×3, first 2 shown]
	v_fmac_f32_e32 v47, v40, v72
	v_fmac_f32_e32 v46, v42, v76
	v_add_f32_e32 v32, v32, v35
	v_fmamk_f32 v35, v38, 0x3f5db3d7, v31
	v_fmac_f32_e32 v31, 0xbf5db3d7, v38
	v_add_f32_e32 v38, v44, v41
	v_fma_f32 v58, -0.5, v36, v58
	v_add_f32_e32 v36, v37, v50
	v_add_f32_e32 v37, v59, v44
	v_sub_f32_e32 v39, v44, v41
	v_fmac_f32_e32 v59, -0.5, v38
	v_sub_f32_e32 v40, v49, v50
	v_add_f32_e32 v42, v68, v47
	v_add_f32_e32 v37, v37, v41
	;; [unrolled: 1-line block ×4, first 2 shown]
	v_fmamk_f32 v38, v39, 0xbf5db3d7, v58
	v_fmac_f32_e32 v58, 0x3f5db3d7, v39
	v_fmamk_f32 v39, v40, 0x3f5db3d7, v59
	v_fmac_f32_e32 v59, 0xbf5db3d7, v40
	v_fma_f32 v40, -0.5, v41, v68
	v_sub_f32_e32 v45, v43, v52
	v_add_f32_e32 v42, v42, v46
	v_fma_f32 v41, -0.5, v44, v69
	v_sub_f32_e32 v46, v47, v46
	v_add_f32_e32 v47, v51, v53
	v_fmamk_f32 v44, v45, 0xbf5db3d7, v40
	v_fmac_f32_e32 v40, 0x3f5db3d7, v45
	v_add_f32_e32 v43, v69, v43
	v_fmamk_f32 v45, v46, 0x3f5db3d7, v41
	v_fmac_f32_e32 v41, 0xbf5db3d7, v46
	v_add_f32_e32 v46, v54, v55
	ds_write_b64 v208, v[10:11] offset:832
	ds_write_b64 v208, v[6:7] offset:1664
	ds_write2_b64 v208, v[8:9], v[12:13] offset1:52
	v_add_nc_u32_e32 v6, 0x1000, v223
	v_add_f32_e32 v48, v70, v51
	v_fma_f32 v70, -0.5, v47, v70
	v_sub_f32_e32 v47, v54, v55
	v_add_f32_e32 v49, v71, v54
	v_add_nc_u32_e32 v54, 0xc00, v208
	v_fmac_f32_e32 v71, -0.5, v46
	v_sub_f32_e32 v50, v51, v53
	v_add_nc_u32_e32 v7, 0x1000, v224
	v_add_f32_e32 v43, v43, v52
	ds_write_b64 v208, v[14:15] offset:1248
	ds_write2_b64 v2, v[16:17], v[22:23] offset0:4 offset1:56
	ds_write2_b64 v2, v[26:27], v[24:25] offset0:108 offset1:160
	;; [unrolled: 1-line block ×3, first 2 shown]
	ds_write_b64 v208, v[20:21] offset:4576
	ds_write2_b64 v6, v[32:33], v[34:35] offset0:112 offset1:216
	v_add_nc_u32_e32 v6, 0x1c00, v225
	v_add_f32_e32 v46, v48, v53
	v_fmamk_f32 v48, v47, 0xbf5db3d7, v70
	v_fmac_f32_e32 v70, 0x3f5db3d7, v47
	v_add_f32_e32 v47, v49, v55
	v_fmamk_f32 v49, v50, 0x3f5db3d7, v71
	v_add_nc_u32_e32 v8, 0x1c00, v226
	v_fmac_f32_e32 v71, 0xbf5db3d7, v50
	ds_write_b64 v223, v[30:31] offset:6656
	ds_write2_b64 v7, v[36:37], v[38:39] offset0:112 offset1:216
	ds_write_b64 v224, v[58:59] offset:6656
	ds_write2_b64 v6, v[42:43], v[44:45] offset0:40 offset1:144
	;; [unrolled: 2-line block ×3, first 2 shown]
	ds_write_b64 v226, v[70:71] offset:9152
	s_waitcnt lgkmcnt(0)
	s_barrier
	buffer_gl0_inv
	ds_read2_b64 v[6:9], v0 offset0:112 offset1:164
	ds_read2_b64 v[10:13], v5 offset0:88 offset1:140
	ds_read2_b64 v[14:17], v208 offset1:52
	ds_read2_b64 v[18:21], v208 offset0:104 offset1:156
	ds_read2_b64 v[22:25], v4 offset0:80 offset1:132
	;; [unrolled: 1-line block ×9, first 2 shown]
	s_waitcnt lgkmcnt(0)
	s_barrier
	buffer_gl0_inv
	v_mul_f32_e32 v55, v170, v7
	v_mul_f32_e32 v56, v170, v6
	;; [unrolled: 1-line block ×4, first 2 shown]
	v_fmac_f32_e32 v55, v169, v6
	v_mul_f32_e32 v6, v176, v8
	v_fmac_f32_e32 v57, v175, v8
	v_mul_f32_e32 v8, v178, v10
	v_mul_f32_e32 v60, v182, v27
	;; [unrolled: 1-line block ×3, first 2 shown]
	v_fma_f32 v9, v175, v9, -v6
	v_mul_f32_e32 v6, v174, v12
	v_fma_f32 v59, v177, v11, -v8
	v_mul_f32_e32 v8, v180, v28
	v_mul_f32_e32 v63, v170, v35
	v_fma_f32 v7, v169, v7, -v56
	v_fma_f32 v61, v173, v13, -v6
	v_mul_f32_e32 v6, v182, v26
	v_fma_f32 v29, v179, v29, -v8
	v_mul_f32_e32 v8, v176, v36
	v_mul_f32_e32 v56, v178, v11
	;; [unrolled: 1-line block ×3, first 2 shown]
	v_fma_f32 v27, v181, v27, -v6
	v_mul_f32_e32 v6, v170, v34
	v_mul_f32_e32 v65, v178, v43
	v_fma_f32 v37, v175, v37, -v8
	v_mul_f32_e32 v8, v182, v50
	v_mul_f32_e32 v66, v174, v45
	v_fma_f32 v35, v169, v35, -v6
	v_mul_f32_e32 v6, v178, v42
	v_fmac_f32_e32 v56, v177, v10
	v_mul_f32_e32 v67, v182, v51
	v_mul_f32_e32 v68, v180, v53
	;; [unrolled: 1-line block ×3, first 2 shown]
	v_fma_f32 v43, v177, v43, -v6
	v_mul_f32_e32 v6, v174, v44
	v_fmac_f32_e32 v60, v181, v26
	v_fmac_f32_e32 v62, v179, v28
	;; [unrolled: 1-line block ×6, first 2 shown]
	v_fma_f32 v45, v173, v45, -v6
	v_fma_f32 v51, v181, v51, -v8
	v_sub_f32_e32 v6, v14, v55
	v_sub_f32_e32 v7, v15, v7
	;; [unrolled: 1-line block ×4, first 2 shown]
	v_fmac_f32_e32 v66, v173, v44
	v_fmac_f32_e32 v67, v181, v50
	;; [unrolled: 1-line block ×3, first 2 shown]
	v_fma_f32 v53, v179, v53, -v10
	v_sub_f32_e32 v26, v22, v60
	v_sub_f32_e32 v27, v23, v27
	;; [unrolled: 1-line block ×6, first 2 shown]
	v_fma_f32 v10, v14, 2.0, -v6
	v_fma_f32 v11, v15, 2.0, -v7
	;; [unrolled: 1-line block ×3, first 2 shown]
	v_sub_f32_e32 v14, v18, v56
	v_fma_f32 v13, v17, 2.0, -v9
	v_sub_f32_e32 v15, v19, v59
	v_sub_f32_e32 v16, v20, v58
	;; [unrolled: 1-line block ×13, first 2 shown]
	v_fma_f32 v22, v22, 2.0, -v26
	v_fma_f32 v23, v23, 2.0, -v27
	;; [unrolled: 1-line block ×16, first 2 shown]
	v_add_nc_u32_e32 v55, 0x1c00, v208
	v_fma_f32 v46, v46, 2.0, -v50
	v_fma_f32 v47, v47, 2.0, -v51
	;; [unrolled: 1-line block ×4, first 2 shown]
	ds_write_b64 v208, v[6:7] offset:2496
	ds_write2_b64 v208, v[10:11], v[12:13] offset1:52
	ds_write2_b64 v2, v[8:9], v[14:15] offset0:108 offset1:160
	ds_write2_b64 v208, v[18:19], v[20:21] offset0:104 offset1:156
	ds_write2_b64 v54, v[16:17], v[26:27] offset0:84 offset1:136
	ds_write2_b64 v4, v[22:23], v[24:25] offset0:80 offset1:132
	ds_write2_b64 v0, v[28:29], v[30:31] offset0:60 offset1:112
	ds_write2_b64 v0, v[32:33], v[38:39] offset0:164 offset1:216
	ds_write2_b64 v55, v[36:37], v[42:43] offset0:92 offset1:144
	ds_write2_b64 v3, v[40:41], v[46:47] offset0:12 offset1:64
	ds_write2_b64 v1, v[44:45], v[50:51] offset0:68 offset1:120
	ds_write2_b64 v3, v[48:49], v[34:35] offset0:116 offset1:168
	ds_write_b64 v208, v[52:53] offset:9568
	s_waitcnt lgkmcnt(0)
	s_barrier
	buffer_gl0_inv
	ds_read2_b64 v[6:9], v0 offset0:112 offset1:164
	ds_read2_b64 v[10:13], v5 offset0:88 offset1:140
	ds_read2_b64 v[14:17], v208 offset1:52
	ds_read2_b64 v[18:21], v208 offset0:104 offset1:156
	ds_read2_b64 v[22:25], v4 offset0:80 offset1:132
	;; [unrolled: 1-line block ×9, first 2 shown]
	s_waitcnt lgkmcnt(11)
	v_mul_f32_e32 v54, v172, v7
	v_mul_f32_e32 v56, v172, v6
	;; [unrolled: 1-line block ×3, first 2 shown]
	s_waitcnt lgkmcnt(10)
	v_mul_f32_e32 v58, v188, v13
	v_fmac_f32_e32 v54, v171, v6
	v_mul_f32_e32 v6, v184, v8
	v_fmac_f32_e32 v57, v183, v8
	v_mul_f32_e32 v8, v186, v10
	s_waitcnt lgkmcnt(6)
	v_mul_f32_e32 v60, v196, v27
	v_mul_f32_e32 v62, v198, v29
	v_fma_f32 v9, v183, v9, -v6
	v_mul_f32_e32 v6, v188, v12
	v_fma_f32 v59, v185, v11, -v8
	v_mul_f32_e32 v8, v198, v28
	s_waitcnt lgkmcnt(4)
	v_mul_f32_e32 v63, v192, v35
	v_fma_f32 v7, v171, v7, -v56
	v_fma_f32 v61, v187, v13, -v6
	v_mul_f32_e32 v6, v196, v26
	v_fma_f32 v29, v197, v29, -v8
	v_mul_f32_e32 v8, v190, v36
	v_mul_f32_e32 v56, v186, v11
	;; [unrolled: 1-line block ×3, first 2 shown]
	v_fma_f32 v27, v195, v27, -v6
	v_mul_f32_e32 v6, v192, v34
	s_waitcnt lgkmcnt(2)
	v_mul_f32_e32 v65, v204, v43
	v_fma_f32 v37, v189, v37, -v8
	s_waitcnt lgkmcnt(1)
	v_mul_f32_e32 v8, v202, v50
	v_fmac_f32_e32 v56, v185, v10
	v_fma_f32 v35, v191, v35, -v6
	v_mul_f32_e32 v6, v204, v42
	v_mul_f32_e32 v66, v200, v45
	;; [unrolled: 1-line block ×5, first 2 shown]
	v_fma_f32 v43, v203, v43, -v6
	v_mul_f32_e32 v6, v200, v44
	v_fmac_f32_e32 v58, v187, v12
	v_fma_f32 v51, v201, v51, -v8
	v_sub_f32_e32 v7, v15, v7
	v_sub_f32_e32 v8, v16, v57
	v_fma_f32 v45, v199, v45, -v6
	v_sub_f32_e32 v6, v14, v54
	v_sub_f32_e32 v9, v17, v9
	v_fmac_f32_e32 v60, v195, v26
	v_fmac_f32_e32 v62, v197, v28
	;; [unrolled: 1-line block ×8, first 2 shown]
	v_fma_f32 v53, v193, v53, -v10
	v_fma_f32 v10, v14, 2.0, -v6
	v_fma_f32 v11, v15, 2.0, -v7
	;; [unrolled: 1-line block ×3, first 2 shown]
	v_sub_f32_e32 v14, v18, v56
	v_fma_f32 v13, v17, 2.0, -v9
	v_sub_f32_e32 v15, v19, v59
	v_sub_f32_e32 v16, v20, v58
	;; [unrolled: 1-line block ×15, first 2 shown]
	s_waitcnt lgkmcnt(0)
	v_sub_f32_e32 v50, v46, v67
	v_sub_f32_e32 v51, v47, v51
	;; [unrolled: 1-line block ×4, first 2 shown]
	v_fma_f32 v18, v18, 2.0, -v14
	v_fma_f32 v19, v19, 2.0, -v15
	;; [unrolled: 1-line block ×20, first 2 shown]
	ds_write_b64 v208, v[6:7] offset:4992
	ds_write2_b64 v208, v[10:11], v[12:13] offset1:52
	ds_write2_b64 v0, v[8:9], v[14:15] offset0:164 offset1:216
	ds_write2_b64 v208, v[18:19], v[20:21] offset0:104 offset1:156
	;; [unrolled: 1-line block ×10, first 2 shown]
	ds_write_b64 v208, v[52:53] offset:9568
	s_waitcnt lgkmcnt(0)
	s_barrier
	buffer_gl0_inv
	ds_read2_b64 v[6:9], v208 offset1:52
	ds_read2_b64 v[10:13], v0 offset0:112 offset1:164
	v_mad_u64_u32 v[16:17], null, s10, v118, 0
	s_waitcnt lgkmcnt(1)
	v_mul_f32_e32 v14, v138, v7
	s_waitcnt lgkmcnt(0)
	v_mul_f32_e32 v18, v144, v11
	v_mul_f32_e32 v28, v142, v12
	v_fmac_f32_e32 v14, v137, v6
	v_mul_f32_e32 v6, v138, v6
	v_fmac_f32_e32 v18, v143, v10
	v_mul_f32_e32 v10, v144, v10
	v_fma_f32 v28, v141, v13, -v28
	v_cvt_f64_f32_e32 v[14:15], v14
	v_fma_f32 v6, v137, v7, -v6
	v_cvt_f64_f32_e32 v[18:19], v18
	;; [unrolled: 2-line block ×3, first 2 shown]
	v_cvt_f64_f32_e32 v[20:21], v20
	v_mul_f64 v[10:11], v[14:15], s[0:1]
	v_mad_u64_u32 v[14:15], null, s8, v209, 0
	v_mad_u64_u32 v[22:23], null, s11, v118, v[17:18]
	v_mul_f64 v[18:19], v[18:19], s[0:1]
	v_mul_f64 v[6:7], v[6:7], s[0:1]
	v_mul_f64 v[20:21], v[20:21], s[0:1]
	v_mad_u64_u32 v[23:24], null, s9, v209, v[15:16]
	v_mov_b32_e32 v17, v22
	v_mul_f32_e32 v24, v134, v9
	v_mul_f32_e32 v22, v134, v8
	v_lshlrev_b64 v[16:17], 3, v[16:17]
	v_fmac_f32_e32 v24, v133, v8
	v_fma_f32 v8, v133, v9, -v22
	v_mov_b32_e32 v15, v23
	v_cvt_f32_f64_e32 v10, v[10:11]
	v_cvt_f64_f32_e32 v[26:27], v8
	v_add_co_u32 v40, vcc_lo, s2, v16
	v_lshlrev_b64 v[22:23], 3, v[14:15]
	v_add_co_ci_u32_e32 v41, vcc_lo, s3, v17, vcc_lo
	v_cvt_f32_f64_e32 v11, v[6:7]
	ds_read2_b64 v[6:9], v208 offset0:104 offset1:156
	ds_read2_b64 v[14:17], v5 offset0:88 offset1:140
	v_cvt_f64_f32_e32 v[24:25], v24
	v_cvt_f32_f64_e32 v18, v[18:19]
	v_mul_f32_e32 v5, v142, v13
	v_cvt_f32_f64_e32 v19, v[20:21]
	v_add_co_u32 v22, vcc_lo, v40, v22
	s_mul_i32 s2, s9, 0x1380
	v_fmac_f32_e32 v5, v141, v12
	s_mul_hi_u32 s3, s8, 0x1380
	v_add_co_ci_u32_e32 v23, vcc_lo, v41, v23, vcc_lo
	s_add_i32 s2, s3, s2
	s_mul_i32 s3, s8, 0x1380
	v_mul_f64 v[20:21], v[26:27], s[0:1]
	v_cvt_f64_f32_e32 v[26:27], v28
	s_waitcnt lgkmcnt(1)
	v_mul_f32_e32 v29, v126, v7
	v_mul_f32_e32 v28, v126, v6
	;; [unrolled: 1-line block ×3, first 2 shown]
	s_waitcnt lgkmcnt(0)
	v_mul_f32_e32 v30, v140, v15
	v_mul_f32_e32 v31, v140, v14
	v_fmac_f32_e32 v29, v125, v6
	v_fma_f32 v7, v125, v7, -v28
	v_mul_f32_e32 v33, v124, v8
	v_mul_f64 v[12:13], v[24:25], s[0:1]
	v_cvt_f64_f32_e32 v[24:25], v5
	v_cvt_f64_f32_e32 v[5:6], v29
	v_fmac_f32_e32 v32, v123, v8
	v_cvt_f64_f32_e32 v[7:8], v7
	v_fmac_f32_e32 v30, v139, v14
	v_fma_f32 v28, v139, v15, -v31
	v_fma_f32 v9, v123, v9, -v33
	v_cvt_f64_f32_e32 v[14:15], v30
	v_cvt_f64_f32_e32 v[30:31], v32
	;; [unrolled: 1-line block ×4, first 2 shown]
	v_add_co_u32 v32, vcc_lo, v22, s3
	v_add_co_ci_u32_e32 v33, vcc_lo, s2, v23, vcc_lo
	global_store_dwordx2 v[22:23], v[10:11], off
	global_store_dwordx2 v[32:33], v[18:19], off
	v_mul_f32_e32 v11, v136, v17
	v_cvt_f32_f64_e32 v12, v[12:13]
	v_cvt_f32_f64_e32 v13, v[20:21]
	v_mul_f64 v[20:21], v[5:6], s[0:1]
	v_mul_f64 v[9:10], v[24:25], s[0:1]
	;; [unrolled: 1-line block ×4, first 2 shown]
	v_fmac_f32_e32 v11, v135, v16
	ds_read2_b64 v[4:7], v4 offset0:80 offset1:132
	v_mul_f32_e32 v8, v136, v16
	v_add_co_u32 v32, vcc_lo, v32, s5
	v_mul_f64 v[26:27], v[30:31], s[0:1]
	v_cvt_f64_f32_e32 v[30:31], v11
	v_mul_f64 v[14:15], v[14:15], s[0:1]
	v_mul_f64 v[24:25], v[28:29], s[0:1]
	;; [unrolled: 1-line block ×3, first 2 shown]
	v_fma_f32 v8, v135, v17, -v8
	v_add_co_ci_u32_e32 v33, vcc_lo, s4, v33, vcc_lo
	global_store_dwordx2 v[32:33], v[12:13], off
	v_cvt_f32_f64_e32 v20, v[20:21]
	v_cvt_f32_f64_e32 v34, v[9:10]
	;; [unrolled: 1-line block ×3, first 2 shown]
	v_cvt_f64_f32_e32 v[22:23], v8
	v_cvt_f32_f64_e32 v35, v[18:19]
	s_waitcnt lgkmcnt(0)
	v_mul_f32_e32 v36, v115, v5
	v_mul_f32_e32 v9, v115, v4
	v_add_co_u32 v18, vcc_lo, v32, s3
	v_cvt_f32_f64_e32 v16, v[26:27]
	v_fmac_f32_e32 v36, v114, v4
	v_fma_f32 v26, v114, v5, -v9
	v_mul_f64 v[4:5], v[30:31], s[0:1]
	v_cvt_f32_f64_e32 v14, v[14:15]
	v_cvt_f32_f64_e32 v15, v[24:25]
	ds_read2_b64 v[8:11], v3 offset0:64 offset1:116
	v_cvt_f32_f64_e32 v17, v[28:29]
	v_add_co_ci_u32_e32 v19, vcc_lo, s2, v33, vcc_lo
	v_add_co_u32 v28, vcc_lo, v18, s5
	v_cvt_f64_f32_e32 v[24:25], v36
	v_add_co_ci_u32_e32 v29, vcc_lo, s4, v19, vcc_lo
	v_add_co_u32 v12, vcc_lo, v28, s3
	v_mul_f64 v[22:23], v[22:23], s[0:1]
	v_add_co_ci_u32_e32 v13, vcc_lo, s2, v29, vcc_lo
	global_store_dwordx2 v[18:19], v[34:35], off
	v_add_co_u32 v18, vcc_lo, v12, s5
	v_cvt_f64_f32_e32 v[26:27], v26
	v_add_co_ci_u32_e32 v19, vcc_lo, s4, v13, vcc_lo
	s_waitcnt lgkmcnt(0)
	v_mul_f32_e32 v30, v132, v9
	global_store_dwordx2 v[28:29], v[20:21], off
	global_store_dwordx2 v[12:13], v[14:15], off
	;; [unrolled: 1-line block ×3, first 2 shown]
	v_cvt_f32_f64_e32 v12, v[4:5]
	v_mul_f32_e32 v4, v132, v8
	v_mul_f32_e32 v5, v128, v7
	v_fmac_f32_e32 v30, v131, v8
	v_mul_f32_e32 v8, v128, v6
	v_mad_u64_u32 v[32:33], null, s8, v207, 0
	v_fma_f32 v4, v131, v9, -v4
	v_mul_f32_e32 v9, v130, v11
	v_fmac_f32_e32 v5, v127, v6
	v_mul_f32_e32 v6, v130, v10
	v_fma_f32 v7, v127, v7, -v8
	v_cvt_f64_f32_e32 v[20:21], v30
	v_fmac_f32_e32 v9, v129, v10
	v_cvt_f32_f64_e32 v13, v[22:23]
	v_fma_f32 v8, v129, v11, -v6
	v_mul_f64 v[14:15], v[24:25], s[0:1]
	v_mul_f64 v[16:17], v[26:27], s[0:1]
	v_cvt_f64_f32_e32 v[22:23], v9
	v_cvt_f64_f32_e32 v[24:25], v4
	;; [unrolled: 1-line block ×3, first 2 shown]
	ds_read2_b64 v[8:11], v3 offset0:168 offset1:220
	v_cvt_f64_f32_e32 v[26:27], v5
	v_cvt_f64_f32_e32 v[28:29], v7
	ds_read2_b64 v[4:7], v2 offset0:56 offset1:108
	v_mov_b32_e32 v3, v33
	v_add_co_u32 v18, vcc_lo, v18, s3
	v_add_co_ci_u32_e32 v19, vcc_lo, s2, v19, vcc_lo
	v_mul_f64 v[20:21], v[20:21], s[0:1]
	v_cvt_f32_f64_e32 v14, v[14:15]
	v_cvt_f32_f64_e32 v15, v[16:17]
	v_mul_f64 v[22:23], v[22:23], s[0:1]
	s_waitcnt lgkmcnt(1)
	v_mul_f32_e32 v36, v120, v9
	v_mul_f64 v[24:25], v[24:25], s[0:1]
	v_add_co_u32 v16, vcc_lo, v18, s5
	s_waitcnt lgkmcnt(0)
	v_mul_f32_e32 v33, v122, v5
	v_mul_f32_e32 v34, v122, v4
	v_fmac_f32_e32 v36, v119, v8
	v_mul_f32_e32 v8, v120, v8
	v_mul_f64 v[26:27], v[26:27], s[0:1]
	v_fmac_f32_e32 v33, v121, v4
	v_fma_f32 v34, v121, v5, -v34
	v_mad_u64_u32 v[3:4], null, s9, v207, v[3:4]
	v_fma_f32 v8, v119, v9, -v8
	v_cvt_f64_f32_e32 v[4:5], v33
	v_cvt_f64_f32_e32 v[34:35], v34
	v_mul_f64 v[28:29], v[28:29], s[0:1]
	v_cvt_f64_f32_e32 v[36:37], v36
	v_cvt_f64_f32_e32 v[8:9], v8
	v_mul_f64 v[30:31], v[30:31], s[0:1]
	v_add_co_ci_u32_e32 v17, vcc_lo, s4, v19, vcc_lo
	v_mov_b32_e32 v33, v3
	global_store_dwordx2 v[18:19], v[12:13], off
	global_store_dwordx2 v[16:17], v[14:15], off
	v_mad_u64_u32 v[38:39], null, 0x1a0, s8, v[16:17]
	v_cvt_f32_f64_e32 v12, v[20:21]
	v_cvt_f32_f64_e32 v13, v[24:25]
	v_lshlrev_b64 v[14:15], 3, v[32:33]
	v_cvt_f32_f64_e32 v16, v[26:27]
	v_mul_f32_e32 v27, v117, v6
	v_mov_b32_e32 v3, v39
	v_mad_u64_u32 v[18:19], null, 0x1a0, s9, v[3:4]
	v_cvt_f32_f64_e32 v19, v[22:23]
	v_mul_f32_e32 v3, v117, v7
	v_mul_f64 v[21:22], v[4:5], s[0:1]
	v_mul_f64 v[23:24], v[34:35], s[0:1]
	v_cvt_f32_f64_e32 v17, v[28:29]
	v_mul_f64 v[25:26], v[36:37], s[0:1]
	v_fma_f32 v4, v116, v7, -v27
	v_mul_f64 v[27:28], v[8:9], s[0:1]
	v_cvt_f32_f64_e32 v20, v[30:31]
	v_fmac_f32_e32 v3, v116, v6
	v_mul_f32_e32 v6, v113, v11
	v_mul_f32_e32 v5, v113, v10
	v_cvt_f64_f32_e32 v[31:32], v4
	v_mov_b32_e32 v39, v18
	v_cvt_f64_f32_e32 v[29:30], v3
	v_fmac_f32_e32 v6, v112, v10
	v_fma_f32 v7, v112, v11, -v5
	ds_read2_b64 v[2:5], v2 offset0:160 offset1:212
	v_add_co_u32 v10, vcc_lo, v40, v14
	v_add_co_ci_u32_e32 v11, vcc_lo, v41, v15, vcc_lo
	v_cvt_f64_f32_e32 v[14:15], v6
	v_cvt_f64_f32_e32 v[33:34], v7
	ds_read2_b64 v[6:9], v1 offset0:16 offset1:68
	v_add_co_u32 v35, vcc_lo, v38, s3
	v_add_co_ci_u32_e32 v36, vcc_lo, s2, v39, vcc_lo
	global_store_dwordx2 v[10:11], v[12:13], off
	global_store_dwordx2 v[38:39], v[16:17], off
	;; [unrolled: 1-line block ×3, first 2 shown]
	v_cvt_f32_f64_e32 v10, v[21:22]
	v_cvt_f32_f64_e32 v11, v[23:24]
	;; [unrolled: 1-line block ×4, first 2 shown]
	v_add_co_u32 v20, vcc_lo, v35, s5
	s_waitcnt lgkmcnt(1)
	v_mul_f32_e32 v26, v109, v3
	v_mul_f64 v[16:17], v[29:30], s[0:1]
	v_add_co_ci_u32_e32 v21, vcc_lo, s4, v36, vcc_lo
	v_add_co_u32 v24, vcc_lo, v20, s3
	v_fmac_f32_e32 v26, v108, v2
	v_mul_f32_e32 v2, v109, v2
	s_waitcnt lgkmcnt(0)
	v_mul_f32_e32 v28, v111, v7
	v_mul_f32_e32 v29, v111, v6
	v_add_co_ci_u32_e32 v25, vcc_lo, s2, v21, vcc_lo
	v_fma_f32 v2, v108, v3, -v2
	v_fmac_f32_e32 v28, v110, v6
	v_fma_f32 v3, v110, v7, -v29
	v_mul_f64 v[18:19], v[31:32], s[0:1]
	global_store_dwordx2 v[20:21], v[10:11], off
	global_store_dwordx2 v[24:25], v[12:13], off
	v_cvt_f64_f32_e32 v[26:27], v26
	v_cvt_f64_f32_e32 v[6:7], v2
	;; [unrolled: 1-line block ×4, first 2 shown]
	ds_read2_b64 v[10:13], v0 offset0:8 offset1:60
	ds_read2_b64 v[0:3], v1 offset0:120 offset1:172
	v_mul_f64 v[14:15], v[14:15], s[0:1]
	v_mul_f64 v[22:23], v[33:34], s[0:1]
	v_mul_f32_e32 v30, v99, v5
	v_mul_f32_e32 v31, v99, v4
	v_cvt_f32_f64_e32 v16, v[16:17]
	v_fmac_f32_e32 v30, v98, v4
	v_fma_f32 v31, v98, v5, -v31
	v_cvt_f32_f64_e32 v17, v[18:19]
	v_add_co_u32 v18, vcc_lo, v24, s5
	v_add_co_ci_u32_e32 v19, vcc_lo, s4, v25, vcc_lo
	v_mul_f64 v[24:25], v[26:27], s[0:1]
	v_mul_f64 v[4:5], v[6:7], s[0:1]
	s_waitcnt lgkmcnt(0)
	v_mul_f32_e32 v34, v97, v1
	v_mul_f64 v[6:7], v[20:21], s[0:1]
	v_mul_f64 v[20:21], v[28:29], s[0:1]
	v_cvt_f64_f32_e32 v[26:27], v30
	v_cvt_f64_f32_e32 v[28:29], v31
	v_mul_f32_e32 v30, v103, v9
	v_mul_f32_e32 v31, v103, v8
	;; [unrolled: 1-line block ×4, first 2 shown]
	v_fmac_f32_e32 v34, v96, v0
	v_mul_f32_e32 v0, v97, v0
	v_mul_f32_e32 v36, v105, v13
	;; [unrolled: 1-line block ×3, first 2 shown]
	v_fmac_f32_e32 v30, v102, v8
	v_fma_f32 v31, v102, v9, -v31
	v_mul_f32_e32 v38, v107, v3
	v_mul_f32_e32 v39, v107, v2
	v_cvt_f32_f64_e32 v14, v[14:15]
	v_cvt_f32_f64_e32 v15, v[22:23]
	v_fmac_f32_e32 v32, v100, v10
	v_fma_f32 v33, v100, v11, -v33
	v_fma_f32 v0, v96, v1, -v0
	v_fmac_f32_e32 v36, v104, v12
	v_fma_f32 v12, v104, v13, -v37
	v_cvt_f64_f32_e32 v[8:9], v30
	v_cvt_f64_f32_e32 v[10:11], v31
	v_fmac_f32_e32 v38, v106, v2
	v_fma_f32 v39, v106, v3, -v39
	v_cvt_f64_f32_e32 v[30:31], v32
	v_cvt_f64_f32_e32 v[32:33], v33
	;; [unrolled: 1-line block ×8, first 2 shown]
	v_add_co_u32 v22, vcc_lo, v18, s3
	v_add_co_ci_u32_e32 v23, vcc_lo, s2, v19, vcc_lo
	global_store_dwordx2 v[18:19], v[16:17], off
	global_store_dwordx2 v[22:23], v[14:15], off
	v_cvt_f32_f64_e32 v15, v[4:5]
	v_mul_f64 v[4:5], v[26:27], s[0:1]
	v_mul_f64 v[16:17], v[28:29], s[0:1]
	v_add_co_u32 v18, vcc_lo, v22, s5
	v_mul_f64 v[8:9], v[8:9], s[0:1]
	v_mul_f64 v[10:11], v[10:11], s[0:1]
	v_add_co_ci_u32_e32 v19, vcc_lo, s4, v23, vcc_lo
	v_cvt_f32_f64_e32 v6, v[6:7]
	v_cvt_f32_f64_e32 v7, v[20:21]
	v_mul_f64 v[20:21], v[30:31], s[0:1]
	v_mul_f64 v[22:23], v[32:33], s[0:1]
	v_cvt_f32_f64_e32 v14, v[24:25]
	v_mul_f64 v[24:25], v[34:35], s[0:1]
	v_mul_f64 v[0:1], v[0:1], s[0:1]
	;; [unrolled: 1-line block ×6, first 2 shown]
	v_add_co_u32 v30, vcc_lo, v18, s3
	v_add_co_ci_u32_e32 v31, vcc_lo, s2, v19, vcc_lo
	v_cvt_f32_f64_e32 v4, v[4:5]
	v_cvt_f32_f64_e32 v5, v[16:17]
	v_add_co_u32 v16, vcc_lo, v30, s5
	v_add_co_ci_u32_e32 v17, vcc_lo, s4, v31, vcc_lo
	v_cvt_f32_f64_e32 v8, v[8:9]
	v_cvt_f32_f64_e32 v9, v[10:11]
	;; [unrolled: 4-line block ×3, first 2 shown]
	v_cvt_f32_f64_e32 v22, v[24:25]
	v_cvt_f32_f64_e32 v23, v[0:1]
	;; [unrolled: 1-line block ×6, first 2 shown]
	v_add_co_u32 v12, vcc_lo, v10, s5
	v_add_co_ci_u32_e32 v13, vcc_lo, s4, v11, vcc_lo
	global_store_dwordx2 v[18:19], v[14:15], off
	v_add_co_u32 v14, vcc_lo, v12, s3
	v_add_co_ci_u32_e32 v15, vcc_lo, s2, v13, vcc_lo
	global_store_dwordx2 v[30:31], v[6:7], off
	;; [unrolled: 3-line block ×4, first 2 shown]
	global_store_dwordx2 v[12:13], v[20:21], off
	global_store_dwordx2 v[14:15], v[22:23], off
	;; [unrolled: 1-line block ×4, first 2 shown]
.LBB0_10:
	s_endpgm
	.section	.rodata,"a",@progbits
	.p2align	6, 0x0
	.amdhsa_kernel bluestein_single_back_len1248_dim1_sp_op_CI_CI
		.amdhsa_group_segment_fixed_size 9984
		.amdhsa_private_segment_fixed_size 48
		.amdhsa_kernarg_size 104
		.amdhsa_user_sgpr_count 6
		.amdhsa_user_sgpr_private_segment_buffer 1
		.amdhsa_user_sgpr_dispatch_ptr 0
		.amdhsa_user_sgpr_queue_ptr 0
		.amdhsa_user_sgpr_kernarg_segment_ptr 1
		.amdhsa_user_sgpr_dispatch_id 0
		.amdhsa_user_sgpr_flat_scratch_init 0
		.amdhsa_user_sgpr_private_segment_size 0
		.amdhsa_wavefront_size32 1
		.amdhsa_uses_dynamic_stack 0
		.amdhsa_system_sgpr_private_segment_wavefront_offset 1
		.amdhsa_system_sgpr_workgroup_id_x 1
		.amdhsa_system_sgpr_workgroup_id_y 0
		.amdhsa_system_sgpr_workgroup_id_z 0
		.amdhsa_system_sgpr_workgroup_info 0
		.amdhsa_system_vgpr_workitem_id 0
		.amdhsa_next_free_vgpr 256
		.amdhsa_next_free_sgpr 24
		.amdhsa_reserve_vcc 1
		.amdhsa_reserve_flat_scratch 0
		.amdhsa_float_round_mode_32 0
		.amdhsa_float_round_mode_16_64 0
		.amdhsa_float_denorm_mode_32 3
		.amdhsa_float_denorm_mode_16_64 3
		.amdhsa_dx10_clamp 1
		.amdhsa_ieee_mode 1
		.amdhsa_fp16_overflow 0
		.amdhsa_workgroup_processor_mode 1
		.amdhsa_memory_ordered 1
		.amdhsa_forward_progress 0
		.amdhsa_shared_vgpr_count 0
		.amdhsa_exception_fp_ieee_invalid_op 0
		.amdhsa_exception_fp_denorm_src 0
		.amdhsa_exception_fp_ieee_div_zero 0
		.amdhsa_exception_fp_ieee_overflow 0
		.amdhsa_exception_fp_ieee_underflow 0
		.amdhsa_exception_fp_ieee_inexact 0
		.amdhsa_exception_int_div_zero 0
	.end_amdhsa_kernel
	.text
.Lfunc_end0:
	.size	bluestein_single_back_len1248_dim1_sp_op_CI_CI, .Lfunc_end0-bluestein_single_back_len1248_dim1_sp_op_CI_CI
                                        ; -- End function
	.section	.AMDGPU.csdata,"",@progbits
; Kernel info:
; codeLenInByte = 29320
; NumSgprs: 26
; NumVgprs: 256
; ScratchSize: 48
; MemoryBound: 0
; FloatMode: 240
; IeeeMode: 1
; LDSByteSize: 9984 bytes/workgroup (compile time only)
; SGPRBlocks: 3
; VGPRBlocks: 31
; NumSGPRsForWavesPerEU: 26
; NumVGPRsForWavesPerEU: 256
; Occupancy: 4
; WaveLimiterHint : 1
; COMPUTE_PGM_RSRC2:SCRATCH_EN: 1
; COMPUTE_PGM_RSRC2:USER_SGPR: 6
; COMPUTE_PGM_RSRC2:TRAP_HANDLER: 0
; COMPUTE_PGM_RSRC2:TGID_X_EN: 1
; COMPUTE_PGM_RSRC2:TGID_Y_EN: 0
; COMPUTE_PGM_RSRC2:TGID_Z_EN: 0
; COMPUTE_PGM_RSRC2:TIDIG_COMP_CNT: 0
	.text
	.p2alignl 6, 3214868480
	.fill 48, 4, 3214868480
	.type	__hip_cuid_9cc06973d4dafdc1,@object ; @__hip_cuid_9cc06973d4dafdc1
	.section	.bss,"aw",@nobits
	.globl	__hip_cuid_9cc06973d4dafdc1
__hip_cuid_9cc06973d4dafdc1:
	.byte	0                               ; 0x0
	.size	__hip_cuid_9cc06973d4dafdc1, 1

	.ident	"AMD clang version 19.0.0git (https://github.com/RadeonOpenCompute/llvm-project roc-6.4.0 25133 c7fe45cf4b819c5991fe208aaa96edf142730f1d)"
	.section	".note.GNU-stack","",@progbits
	.addrsig
	.addrsig_sym __hip_cuid_9cc06973d4dafdc1
	.amdgpu_metadata
---
amdhsa.kernels:
  - .args:
      - .actual_access:  read_only
        .address_space:  global
        .offset:         0
        .size:           8
        .value_kind:     global_buffer
      - .actual_access:  read_only
        .address_space:  global
        .offset:         8
        .size:           8
        .value_kind:     global_buffer
      - .actual_access:  read_only
        .address_space:  global
        .offset:         16
        .size:           8
        .value_kind:     global_buffer
      - .actual_access:  read_only
        .address_space:  global
        .offset:         24
        .size:           8
        .value_kind:     global_buffer
      - .actual_access:  read_only
        .address_space:  global
        .offset:         32
        .size:           8
        .value_kind:     global_buffer
      - .offset:         40
        .size:           8
        .value_kind:     by_value
      - .address_space:  global
        .offset:         48
        .size:           8
        .value_kind:     global_buffer
      - .address_space:  global
        .offset:         56
        .size:           8
        .value_kind:     global_buffer
      - .address_space:  global
        .offset:         64
        .size:           8
        .value_kind:     global_buffer
      - .address_space:  global
        .offset:         72
        .size:           8
        .value_kind:     global_buffer
      - .offset:         80
        .size:           4
        .value_kind:     by_value
      - .address_space:  global
        .offset:         88
        .size:           8
        .value_kind:     global_buffer
      - .address_space:  global
        .offset:         96
        .size:           8
        .value_kind:     global_buffer
    .group_segment_fixed_size: 9984
    .kernarg_segment_align: 8
    .kernarg_segment_size: 104
    .language:       OpenCL C
    .language_version:
      - 2
      - 0
    .max_flat_workgroup_size: 52
    .name:           bluestein_single_back_len1248_dim1_sp_op_CI_CI
    .private_segment_fixed_size: 48
    .sgpr_count:     26
    .sgpr_spill_count: 0
    .symbol:         bluestein_single_back_len1248_dim1_sp_op_CI_CI.kd
    .uniform_work_group_size: 1
    .uses_dynamic_stack: false
    .vgpr_count:     256
    .vgpr_spill_count: 11
    .wavefront_size: 32
    .workgroup_processor_mode: 1
amdhsa.target:   amdgcn-amd-amdhsa--gfx1030
amdhsa.version:
  - 1
  - 2
...

	.end_amdgpu_metadata
